;; amdgpu-corpus repo=LLNL/RAJAPerf kind=compiled arch=gfx942 opt=O3
	.text
	.amdgcn_target "amdgcn-amd-amdhsa--gfx942"
	.amdhsa_code_object_version 6
	.section	.text._ZN7rocprim6detail31init_lookback_scan_state_kernelINS0_19lookback_scan_stateIdLb1ELb1EEEEEvT_jjPNS4_10value_typeE,"axG",@progbits,_ZN7rocprim6detail31init_lookback_scan_state_kernelINS0_19lookback_scan_stateIdLb1ELb1EEEEEvT_jjPNS4_10value_typeE,comdat
	.protected	_ZN7rocprim6detail31init_lookback_scan_state_kernelINS0_19lookback_scan_stateIdLb1ELb1EEEEEvT_jjPNS4_10value_typeE ; -- Begin function _ZN7rocprim6detail31init_lookback_scan_state_kernelINS0_19lookback_scan_stateIdLb1ELb1EEEEEvT_jjPNS4_10value_typeE
	.globl	_ZN7rocprim6detail31init_lookback_scan_state_kernelINS0_19lookback_scan_stateIdLb1ELb1EEEEEvT_jjPNS4_10value_typeE
	.p2align	8
	.type	_ZN7rocprim6detail31init_lookback_scan_state_kernelINS0_19lookback_scan_stateIdLb1ELb1EEEEEvT_jjPNS4_10value_typeE,@function
_ZN7rocprim6detail31init_lookback_scan_state_kernelINS0_19lookback_scan_stateIdLb1ELb1EEEEEvT_jjPNS4_10value_typeE: ; @_ZN7rocprim6detail31init_lookback_scan_state_kernelINS0_19lookback_scan_stateIdLb1ELb1EEEEEvT_jjPNS4_10value_typeE
; %bb.0:
	s_load_dword s3, s[0:1], 0x24
	s_load_dwordx2 s[8:9], s[0:1], 0x10
	s_load_dwordx4 s[4:7], s[0:1], 0x0
	s_waitcnt lgkmcnt(0)
	s_and_b32 s0, s3, 0xffff
	s_mul_i32 s2, s2, s0
	s_cmp_eq_u64 s[8:9], 0
	v_add_u32_e32 v0, s2, v0
	s_cbranch_scc1 .LBB0_10
; %bb.1:
	s_cmp_lt_u32 s7, s6
	s_cselect_b32 s0, s7, 0
	s_mov_b32 s3, 0
	v_cmp_eq_u32_e32 vcc, s0, v0
	s_and_saveexec_b64 s[0:1], vcc
	s_cbranch_execz .LBB0_9
; %bb.2:
	s_add_i32 s2, s7, 64
	s_lshl_b64 s[2:3], s[2:3], 4
	s_add_u32 s12, s4, s2
	s_addc_u32 s13, s5, s3
	v_mov_b64_e32 v[2:3], s[12:13]
	;;#ASMSTART
	global_load_dwordx4 v[2:5], v[2:3] off sc1	
s_waitcnt vmcnt(0)
	;;#ASMEND
	v_mov_b32_e32 v7, 0
	v_and_b32_e32 v6, 0xff, v4
	s_mov_b64 s[10:11], 0
	v_cmp_eq_u64_e32 vcc, 0, v[6:7]
	s_and_saveexec_b64 s[2:3], vcc
	s_cbranch_execz .LBB0_8
; %bb.3:
	s_mov_b32 s7, 1
	v_mov_b64_e32 v[8:9], s[12:13]
.LBB0_4:                                ; =>This Loop Header: Depth=1
                                        ;     Child Loop BB0_5 Depth 2
	s_max_u32 s12, s7, 1
.LBB0_5:                                ;   Parent Loop BB0_4 Depth=1
                                        ; =>  This Inner Loop Header: Depth=2
	s_add_i32 s12, s12, -1
	s_cmp_eq_u32 s12, 0
	s_sleep 1
	s_cbranch_scc0 .LBB0_5
; %bb.6:                                ;   in Loop: Header=BB0_4 Depth=1
	s_cmp_lt_u32 s7, 32
	s_cselect_b64 s[12:13], -1, 0
	s_cmp_lg_u64 s[12:13], 0
	;;#ASMSTART
	global_load_dwordx4 v[2:5], v[8:9] off sc1	
s_waitcnt vmcnt(0)
	;;#ASMEND
	s_addc_u32 s7, s7, 0
	v_and_b32_e32 v6, 0xff, v4
	v_cmp_ne_u64_e32 vcc, 0, v[6:7]
	s_or_b64 s[10:11], vcc, s[10:11]
	s_andn2_b64 exec, exec, s[10:11]
	s_cbranch_execnz .LBB0_4
; %bb.7:
	s_or_b64 exec, exec, s[10:11]
.LBB0_8:
	s_or_b64 exec, exec, s[2:3]
	v_mov_b32_e32 v1, 0
	global_store_dwordx2 v1, v[2:3], s[8:9]
.LBB0_9:
	s_or_b64 exec, exec, s[0:1]
.LBB0_10:
	v_cmp_gt_u32_e32 vcc, s6, v0
	s_and_saveexec_b64 s[0:1], vcc
	s_cbranch_execnz .LBB0_13
; %bb.11:
	s_or_b64 exec, exec, s[0:1]
	v_cmp_gt_u32_e32 vcc, 64, v0
	s_and_saveexec_b64 s[0:1], vcc
	s_cbranch_execnz .LBB0_14
.LBB0_12:
	s_endpgm
.LBB0_13:
	v_add_u32_e32 v2, 64, v0
	v_mov_b32_e32 v3, 0
	v_lshl_add_u64 v[6:7], v[2:3], 4, s[4:5]
	v_mov_b32_e32 v2, v3
	v_mov_b32_e32 v4, v3
	;; [unrolled: 1-line block ×3, first 2 shown]
	global_store_dwordx4 v[6:7], v[2:5], off
	s_or_b64 exec, exec, s[0:1]
	v_cmp_gt_u32_e32 vcc, 64, v0
	s_and_saveexec_b64 s[0:1], vcc
	s_cbranch_execz .LBB0_12
.LBB0_14:
	v_mov_b32_e32 v1, 0
	v_lshl_add_u64 v[4:5], v[0:1], 4, s[4:5]
	v_mov_b32_e32 v2, 0xff
	v_mov_b32_e32 v0, v1
	;; [unrolled: 1-line block ×3, first 2 shown]
	global_store_dwordx4 v[4:5], v[0:3], off
	s_endpgm
	.section	.rodata,"a",@progbits
	.p2align	6, 0x0
	.amdhsa_kernel _ZN7rocprim6detail31init_lookback_scan_state_kernelINS0_19lookback_scan_stateIdLb1ELb1EEEEEvT_jjPNS4_10value_typeE
		.amdhsa_group_segment_fixed_size 0
		.amdhsa_private_segment_fixed_size 0
		.amdhsa_kernarg_size 280
		.amdhsa_user_sgpr_count 2
		.amdhsa_user_sgpr_dispatch_ptr 0
		.amdhsa_user_sgpr_queue_ptr 0
		.amdhsa_user_sgpr_kernarg_segment_ptr 1
		.amdhsa_user_sgpr_dispatch_id 0
		.amdhsa_user_sgpr_kernarg_preload_length 0
		.amdhsa_user_sgpr_kernarg_preload_offset 0
		.amdhsa_user_sgpr_private_segment_size 0
		.amdhsa_uses_dynamic_stack 0
		.amdhsa_enable_private_segment 0
		.amdhsa_system_sgpr_workgroup_id_x 1
		.amdhsa_system_sgpr_workgroup_id_y 0
		.amdhsa_system_sgpr_workgroup_id_z 0
		.amdhsa_system_sgpr_workgroup_info 0
		.amdhsa_system_vgpr_workitem_id 0
		.amdhsa_next_free_vgpr 10
		.amdhsa_next_free_sgpr 14
		.amdhsa_accum_offset 12
		.amdhsa_reserve_vcc 1
		.amdhsa_float_round_mode_32 0
		.amdhsa_float_round_mode_16_64 0
		.amdhsa_float_denorm_mode_32 3
		.amdhsa_float_denorm_mode_16_64 3
		.amdhsa_dx10_clamp 1
		.amdhsa_ieee_mode 1
		.amdhsa_fp16_overflow 0
		.amdhsa_tg_split 0
		.amdhsa_exception_fp_ieee_invalid_op 0
		.amdhsa_exception_fp_denorm_src 0
		.amdhsa_exception_fp_ieee_div_zero 0
		.amdhsa_exception_fp_ieee_overflow 0
		.amdhsa_exception_fp_ieee_underflow 0
		.amdhsa_exception_fp_ieee_inexact 0
		.amdhsa_exception_int_div_zero 0
	.end_amdhsa_kernel
	.section	.text._ZN7rocprim6detail31init_lookback_scan_state_kernelINS0_19lookback_scan_stateIdLb1ELb1EEEEEvT_jjPNS4_10value_typeE,"axG",@progbits,_ZN7rocprim6detail31init_lookback_scan_state_kernelINS0_19lookback_scan_stateIdLb1ELb1EEEEEvT_jjPNS4_10value_typeE,comdat
.Lfunc_end0:
	.size	_ZN7rocprim6detail31init_lookback_scan_state_kernelINS0_19lookback_scan_stateIdLb1ELb1EEEEEvT_jjPNS4_10value_typeE, .Lfunc_end0-_ZN7rocprim6detail31init_lookback_scan_state_kernelINS0_19lookback_scan_stateIdLb1ELb1EEEEEvT_jjPNS4_10value_typeE
                                        ; -- End function
	.section	.AMDGPU.csdata,"",@progbits
; Kernel info:
; codeLenInByte = 372
; NumSgprs: 20
; NumVgprs: 10
; NumAgprs: 0
; TotalNumVgprs: 10
; ScratchSize: 0
; MemoryBound: 0
; FloatMode: 240
; IeeeMode: 1
; LDSByteSize: 0 bytes/workgroup (compile time only)
; SGPRBlocks: 2
; VGPRBlocks: 1
; NumSGPRsForWavesPerEU: 20
; NumVGPRsForWavesPerEU: 10
; AccumOffset: 12
; Occupancy: 8
; WaveLimiterHint : 0
; COMPUTE_PGM_RSRC2:SCRATCH_EN: 0
; COMPUTE_PGM_RSRC2:USER_SGPR: 2
; COMPUTE_PGM_RSRC2:TRAP_HANDLER: 0
; COMPUTE_PGM_RSRC2:TGID_X_EN: 1
; COMPUTE_PGM_RSRC2:TGID_Y_EN: 0
; COMPUTE_PGM_RSRC2:TGID_Z_EN: 0
; COMPUTE_PGM_RSRC2:TIDIG_COMP_CNT: 0
; COMPUTE_PGM_RSRC3_GFX90A:ACCUM_OFFSET: 2
; COMPUTE_PGM_RSRC3_GFX90A:TG_SPLIT: 0
	.section	.text._ZN7rocprim6detail31init_lookback_scan_state_kernelINS0_19lookback_scan_stateIdLb0ELb1EEEEEvT_jjPNS4_10value_typeE,"axG",@progbits,_ZN7rocprim6detail31init_lookback_scan_state_kernelINS0_19lookback_scan_stateIdLb0ELb1EEEEEvT_jjPNS4_10value_typeE,comdat
	.protected	_ZN7rocprim6detail31init_lookback_scan_state_kernelINS0_19lookback_scan_stateIdLb0ELb1EEEEEvT_jjPNS4_10value_typeE ; -- Begin function _ZN7rocprim6detail31init_lookback_scan_state_kernelINS0_19lookback_scan_stateIdLb0ELb1EEEEEvT_jjPNS4_10value_typeE
	.globl	_ZN7rocprim6detail31init_lookback_scan_state_kernelINS0_19lookback_scan_stateIdLb0ELb1EEEEEvT_jjPNS4_10value_typeE
	.p2align	8
	.type	_ZN7rocprim6detail31init_lookback_scan_state_kernelINS0_19lookback_scan_stateIdLb0ELb1EEEEEvT_jjPNS4_10value_typeE,@function
_ZN7rocprim6detail31init_lookback_scan_state_kernelINS0_19lookback_scan_stateIdLb0ELb1EEEEEvT_jjPNS4_10value_typeE: ; @_ZN7rocprim6detail31init_lookback_scan_state_kernelINS0_19lookback_scan_stateIdLb0ELb1EEEEEvT_jjPNS4_10value_typeE
; %bb.0:
	s_load_dword s3, s[0:1], 0x24
	s_load_dwordx2 s[8:9], s[0:1], 0x10
	s_load_dwordx4 s[4:7], s[0:1], 0x0
	s_waitcnt lgkmcnt(0)
	s_and_b32 s0, s3, 0xffff
	s_mul_i32 s2, s2, s0
	s_cmp_eq_u64 s[8:9], 0
	v_add_u32_e32 v0, s2, v0
	s_cbranch_scc1 .LBB1_8
; %bb.1:
	s_cmp_lt_u32 s7, s6
	s_cselect_b32 s0, s7, 0
	s_mov_b32 s3, 0
	v_cmp_eq_u32_e32 vcc, s0, v0
	s_and_saveexec_b64 s[0:1], vcc
	s_cbranch_execz .LBB1_7
; %bb.2:
	s_add_i32 s2, s7, 64
	s_lshl_b64 s[2:3], s[2:3], 4
	s_add_u32 s12, s4, s2
	s_addc_u32 s13, s5, s3
	v_mov_b64_e32 v[2:3], s[12:13]
	;;#ASMSTART
	global_load_dwordx4 v[2:5], v[2:3] off sc1	
s_waitcnt vmcnt(0)
	;;#ASMEND
	v_mov_b32_e32 v7, 0
	v_and_b32_e32 v6, 0xff, v4
	s_mov_b64 s[10:11], 0
	v_cmp_eq_u64_e32 vcc, 0, v[6:7]
	s_and_saveexec_b64 s[2:3], vcc
	s_cbranch_execz .LBB1_6
; %bb.3:
	v_mov_b64_e32 v[8:9], s[12:13]
.LBB1_4:                                ; =>This Inner Loop Header: Depth=1
	;;#ASMSTART
	global_load_dwordx4 v[2:5], v[8:9] off sc1	
s_waitcnt vmcnt(0)
	;;#ASMEND
	s_nop 0
	v_and_b32_e32 v6, 0xff, v4
	v_cmp_ne_u64_e32 vcc, 0, v[6:7]
	s_or_b64 s[10:11], vcc, s[10:11]
	s_andn2_b64 exec, exec, s[10:11]
	s_cbranch_execnz .LBB1_4
; %bb.5:
	s_or_b64 exec, exec, s[10:11]
.LBB1_6:
	s_or_b64 exec, exec, s[2:3]
	v_mov_b32_e32 v1, 0
	global_store_dwordx2 v1, v[2:3], s[8:9]
.LBB1_7:
	s_or_b64 exec, exec, s[0:1]
.LBB1_8:
	v_cmp_gt_u32_e32 vcc, s6, v0
	s_and_saveexec_b64 s[0:1], vcc
	s_cbranch_execnz .LBB1_11
; %bb.9:
	s_or_b64 exec, exec, s[0:1]
	v_cmp_gt_u32_e32 vcc, 64, v0
	s_and_saveexec_b64 s[0:1], vcc
	s_cbranch_execnz .LBB1_12
.LBB1_10:
	s_endpgm
.LBB1_11:
	v_add_u32_e32 v2, 64, v0
	v_mov_b32_e32 v3, 0
	v_lshl_add_u64 v[6:7], v[2:3], 4, s[4:5]
	v_mov_b32_e32 v2, v3
	v_mov_b32_e32 v4, v3
	;; [unrolled: 1-line block ×3, first 2 shown]
	global_store_dwordx4 v[6:7], v[2:5], off
	s_or_b64 exec, exec, s[0:1]
	v_cmp_gt_u32_e32 vcc, 64, v0
	s_and_saveexec_b64 s[0:1], vcc
	s_cbranch_execz .LBB1_10
.LBB1_12:
	v_mov_b32_e32 v1, 0
	v_lshl_add_u64 v[4:5], v[0:1], 4, s[4:5]
	v_mov_b32_e32 v2, 0xff
	v_mov_b32_e32 v0, v1
	;; [unrolled: 1-line block ×3, first 2 shown]
	global_store_dwordx4 v[4:5], v[0:3], off
	s_endpgm
	.section	.rodata,"a",@progbits
	.p2align	6, 0x0
	.amdhsa_kernel _ZN7rocprim6detail31init_lookback_scan_state_kernelINS0_19lookback_scan_stateIdLb0ELb1EEEEEvT_jjPNS4_10value_typeE
		.amdhsa_group_segment_fixed_size 0
		.amdhsa_private_segment_fixed_size 0
		.amdhsa_kernarg_size 280
		.amdhsa_user_sgpr_count 2
		.amdhsa_user_sgpr_dispatch_ptr 0
		.amdhsa_user_sgpr_queue_ptr 0
		.amdhsa_user_sgpr_kernarg_segment_ptr 1
		.amdhsa_user_sgpr_dispatch_id 0
		.amdhsa_user_sgpr_kernarg_preload_length 0
		.amdhsa_user_sgpr_kernarg_preload_offset 0
		.amdhsa_user_sgpr_private_segment_size 0
		.amdhsa_uses_dynamic_stack 0
		.amdhsa_enable_private_segment 0
		.amdhsa_system_sgpr_workgroup_id_x 1
		.amdhsa_system_sgpr_workgroup_id_y 0
		.amdhsa_system_sgpr_workgroup_id_z 0
		.amdhsa_system_sgpr_workgroup_info 0
		.amdhsa_system_vgpr_workitem_id 0
		.amdhsa_next_free_vgpr 10
		.amdhsa_next_free_sgpr 14
		.amdhsa_accum_offset 12
		.amdhsa_reserve_vcc 1
		.amdhsa_float_round_mode_32 0
		.amdhsa_float_round_mode_16_64 0
		.amdhsa_float_denorm_mode_32 3
		.amdhsa_float_denorm_mode_16_64 3
		.amdhsa_dx10_clamp 1
		.amdhsa_ieee_mode 1
		.amdhsa_fp16_overflow 0
		.amdhsa_tg_split 0
		.amdhsa_exception_fp_ieee_invalid_op 0
		.amdhsa_exception_fp_denorm_src 0
		.amdhsa_exception_fp_ieee_div_zero 0
		.amdhsa_exception_fp_ieee_overflow 0
		.amdhsa_exception_fp_ieee_underflow 0
		.amdhsa_exception_fp_ieee_inexact 0
		.amdhsa_exception_int_div_zero 0
	.end_amdhsa_kernel
	.section	.text._ZN7rocprim6detail31init_lookback_scan_state_kernelINS0_19lookback_scan_stateIdLb0ELb1EEEEEvT_jjPNS4_10value_typeE,"axG",@progbits,_ZN7rocprim6detail31init_lookback_scan_state_kernelINS0_19lookback_scan_stateIdLb0ELb1EEEEEvT_jjPNS4_10value_typeE,comdat
.Lfunc_end1:
	.size	_ZN7rocprim6detail31init_lookback_scan_state_kernelINS0_19lookback_scan_stateIdLb0ELb1EEEEEvT_jjPNS4_10value_typeE, .Lfunc_end1-_ZN7rocprim6detail31init_lookback_scan_state_kernelINS0_19lookback_scan_stateIdLb0ELb1EEEEEvT_jjPNS4_10value_typeE
                                        ; -- End function
	.section	.AMDGPU.csdata,"",@progbits
; Kernel info:
; codeLenInByte = 336
; NumSgprs: 20
; NumVgprs: 10
; NumAgprs: 0
; TotalNumVgprs: 10
; ScratchSize: 0
; MemoryBound: 0
; FloatMode: 240
; IeeeMode: 1
; LDSByteSize: 0 bytes/workgroup (compile time only)
; SGPRBlocks: 2
; VGPRBlocks: 1
; NumSGPRsForWavesPerEU: 20
; NumVGPRsForWavesPerEU: 10
; AccumOffset: 12
; Occupancy: 8
; WaveLimiterHint : 0
; COMPUTE_PGM_RSRC2:SCRATCH_EN: 0
; COMPUTE_PGM_RSRC2:USER_SGPR: 2
; COMPUTE_PGM_RSRC2:TRAP_HANDLER: 0
; COMPUTE_PGM_RSRC2:TGID_X_EN: 1
; COMPUTE_PGM_RSRC2:TGID_Y_EN: 0
; COMPUTE_PGM_RSRC2:TGID_Z_EN: 0
; COMPUTE_PGM_RSRC2:TIDIG_COMP_CNT: 0
; COMPUTE_PGM_RSRC3_GFX90A:ACCUM_OFFSET: 2
; COMPUTE_PGM_RSRC3_GFX90A:TG_SPLIT: 0
	.section	.text._ZN7rocprim6detail20lookback_scan_kernelILNS0_25lookback_scan_determinismE0ELb1ENS0_19wrapped_scan_configINS_14default_configEdEEPdS6_N4RAJA9operators4plusIdddEEddNS0_19lookback_scan_stateIdLb1ELb1EEEEEvT2_T3_mT5_T4_T7_jPT6_SJ_bb,"axG",@progbits,_ZN7rocprim6detail20lookback_scan_kernelILNS0_25lookback_scan_determinismE0ELb1ENS0_19wrapped_scan_configINS_14default_configEdEEPdS6_N4RAJA9operators4plusIdddEEddNS0_19lookback_scan_stateIdLb1ELb1EEEEEvT2_T3_mT5_T4_T7_jPT6_SJ_bb,comdat
	.protected	_ZN7rocprim6detail20lookback_scan_kernelILNS0_25lookback_scan_determinismE0ELb1ENS0_19wrapped_scan_configINS_14default_configEdEEPdS6_N4RAJA9operators4plusIdddEEddNS0_19lookback_scan_stateIdLb1ELb1EEEEEvT2_T3_mT5_T4_T7_jPT6_SJ_bb ; -- Begin function _ZN7rocprim6detail20lookback_scan_kernelILNS0_25lookback_scan_determinismE0ELb1ENS0_19wrapped_scan_configINS_14default_configEdEEPdS6_N4RAJA9operators4plusIdddEEddNS0_19lookback_scan_stateIdLb1ELb1EEEEEvT2_T3_mT5_T4_T7_jPT6_SJ_bb
	.globl	_ZN7rocprim6detail20lookback_scan_kernelILNS0_25lookback_scan_determinismE0ELb1ENS0_19wrapped_scan_configINS_14default_configEdEEPdS6_N4RAJA9operators4plusIdddEEddNS0_19lookback_scan_stateIdLb1ELb1EEEEEvT2_T3_mT5_T4_T7_jPT6_SJ_bb
	.p2align	8
	.type	_ZN7rocprim6detail20lookback_scan_kernelILNS0_25lookback_scan_determinismE0ELb1ENS0_19wrapped_scan_configINS_14default_configEdEEPdS6_N4RAJA9operators4plusIdddEEddNS0_19lookback_scan_stateIdLb1ELb1EEEEEvT2_T3_mT5_T4_T7_jPT6_SJ_bb,@function
_ZN7rocprim6detail20lookback_scan_kernelILNS0_25lookback_scan_determinismE0ELb1ENS0_19wrapped_scan_configINS_14default_configEdEEPdS6_N4RAJA9operators4plusIdddEEddNS0_19lookback_scan_stateIdLb1ELb1EEEEEvT2_T3_mT5_T4_T7_jPT6_SJ_bb: ; @_ZN7rocprim6detail20lookback_scan_kernelILNS0_25lookback_scan_determinismE0ELb1ENS0_19wrapped_scan_configINS_14default_configEdEEPdS6_N4RAJA9operators4plusIdddEEddNS0_19lookback_scan_stateIdLb1ELb1EEEEEvT2_T3_mT5_T4_T7_jPT6_SJ_bb
; %bb.0:
	s_endpgm
	.section	.rodata,"a",@progbits
	.p2align	6, 0x0
	.amdhsa_kernel _ZN7rocprim6detail20lookback_scan_kernelILNS0_25lookback_scan_determinismE0ELb1ENS0_19wrapped_scan_configINS_14default_configEdEEPdS6_N4RAJA9operators4plusIdddEEddNS0_19lookback_scan_stateIdLb1ELb1EEEEEvT2_T3_mT5_T4_T7_jPT6_SJ_bb
		.amdhsa_group_segment_fixed_size 0
		.amdhsa_private_segment_fixed_size 0
		.amdhsa_kernarg_size 76
		.amdhsa_user_sgpr_count 2
		.amdhsa_user_sgpr_dispatch_ptr 0
		.amdhsa_user_sgpr_queue_ptr 0
		.amdhsa_user_sgpr_kernarg_segment_ptr 1
		.amdhsa_user_sgpr_dispatch_id 0
		.amdhsa_user_sgpr_kernarg_preload_length 0
		.amdhsa_user_sgpr_kernarg_preload_offset 0
		.amdhsa_user_sgpr_private_segment_size 0
		.amdhsa_uses_dynamic_stack 0
		.amdhsa_enable_private_segment 0
		.amdhsa_system_sgpr_workgroup_id_x 1
		.amdhsa_system_sgpr_workgroup_id_y 0
		.amdhsa_system_sgpr_workgroup_id_z 0
		.amdhsa_system_sgpr_workgroup_info 0
		.amdhsa_system_vgpr_workitem_id 0
		.amdhsa_next_free_vgpr 1
		.amdhsa_next_free_sgpr 0
		.amdhsa_accum_offset 4
		.amdhsa_reserve_vcc 0
		.amdhsa_float_round_mode_32 0
		.amdhsa_float_round_mode_16_64 0
		.amdhsa_float_denorm_mode_32 3
		.amdhsa_float_denorm_mode_16_64 3
		.amdhsa_dx10_clamp 1
		.amdhsa_ieee_mode 1
		.amdhsa_fp16_overflow 0
		.amdhsa_tg_split 0
		.amdhsa_exception_fp_ieee_invalid_op 0
		.amdhsa_exception_fp_denorm_src 0
		.amdhsa_exception_fp_ieee_div_zero 0
		.amdhsa_exception_fp_ieee_overflow 0
		.amdhsa_exception_fp_ieee_underflow 0
		.amdhsa_exception_fp_ieee_inexact 0
		.amdhsa_exception_int_div_zero 0
	.end_amdhsa_kernel
	.section	.text._ZN7rocprim6detail20lookback_scan_kernelILNS0_25lookback_scan_determinismE0ELb1ENS0_19wrapped_scan_configINS_14default_configEdEEPdS6_N4RAJA9operators4plusIdddEEddNS0_19lookback_scan_stateIdLb1ELb1EEEEEvT2_T3_mT5_T4_T7_jPT6_SJ_bb,"axG",@progbits,_ZN7rocprim6detail20lookback_scan_kernelILNS0_25lookback_scan_determinismE0ELb1ENS0_19wrapped_scan_configINS_14default_configEdEEPdS6_N4RAJA9operators4plusIdddEEddNS0_19lookback_scan_stateIdLb1ELb1EEEEEvT2_T3_mT5_T4_T7_jPT6_SJ_bb,comdat
.Lfunc_end2:
	.size	_ZN7rocprim6detail20lookback_scan_kernelILNS0_25lookback_scan_determinismE0ELb1ENS0_19wrapped_scan_configINS_14default_configEdEEPdS6_N4RAJA9operators4plusIdddEEddNS0_19lookback_scan_stateIdLb1ELb1EEEEEvT2_T3_mT5_T4_T7_jPT6_SJ_bb, .Lfunc_end2-_ZN7rocprim6detail20lookback_scan_kernelILNS0_25lookback_scan_determinismE0ELb1ENS0_19wrapped_scan_configINS_14default_configEdEEPdS6_N4RAJA9operators4plusIdddEEddNS0_19lookback_scan_stateIdLb1ELb1EEEEEvT2_T3_mT5_T4_T7_jPT6_SJ_bb
                                        ; -- End function
	.section	.AMDGPU.csdata,"",@progbits
; Kernel info:
; codeLenInByte = 4
; NumSgprs: 6
; NumVgprs: 0
; NumAgprs: 0
; TotalNumVgprs: 0
; ScratchSize: 0
; MemoryBound: 0
; FloatMode: 240
; IeeeMode: 1
; LDSByteSize: 0 bytes/workgroup (compile time only)
; SGPRBlocks: 0
; VGPRBlocks: 0
; NumSGPRsForWavesPerEU: 6
; NumVGPRsForWavesPerEU: 1
; AccumOffset: 4
; Occupancy: 8
; WaveLimiterHint : 0
; COMPUTE_PGM_RSRC2:SCRATCH_EN: 0
; COMPUTE_PGM_RSRC2:USER_SGPR: 2
; COMPUTE_PGM_RSRC2:TRAP_HANDLER: 0
; COMPUTE_PGM_RSRC2:TGID_X_EN: 1
; COMPUTE_PGM_RSRC2:TGID_Y_EN: 0
; COMPUTE_PGM_RSRC2:TGID_Z_EN: 0
; COMPUTE_PGM_RSRC2:TIDIG_COMP_CNT: 0
; COMPUTE_PGM_RSRC3_GFX90A:ACCUM_OFFSET: 0
; COMPUTE_PGM_RSRC3_GFX90A:TG_SPLIT: 0
	.section	.text._ZN7rocprim6detail20lookback_scan_kernelILNS0_25lookback_scan_determinismE0ELb1ENS0_19wrapped_scan_configINS_14default_configEdEEPdS6_N4RAJA9operators4plusIdddEEddNS0_19lookback_scan_stateIdLb0ELb1EEEEEvT2_T3_mT5_T4_T7_jPT6_SJ_bb,"axG",@progbits,_ZN7rocprim6detail20lookback_scan_kernelILNS0_25lookback_scan_determinismE0ELb1ENS0_19wrapped_scan_configINS_14default_configEdEEPdS6_N4RAJA9operators4plusIdddEEddNS0_19lookback_scan_stateIdLb0ELb1EEEEEvT2_T3_mT5_T4_T7_jPT6_SJ_bb,comdat
	.protected	_ZN7rocprim6detail20lookback_scan_kernelILNS0_25lookback_scan_determinismE0ELb1ENS0_19wrapped_scan_configINS_14default_configEdEEPdS6_N4RAJA9operators4plusIdddEEddNS0_19lookback_scan_stateIdLb0ELb1EEEEEvT2_T3_mT5_T4_T7_jPT6_SJ_bb ; -- Begin function _ZN7rocprim6detail20lookback_scan_kernelILNS0_25lookback_scan_determinismE0ELb1ENS0_19wrapped_scan_configINS_14default_configEdEEPdS6_N4RAJA9operators4plusIdddEEddNS0_19lookback_scan_stateIdLb0ELb1EEEEEvT2_T3_mT5_T4_T7_jPT6_SJ_bb
	.globl	_ZN7rocprim6detail20lookback_scan_kernelILNS0_25lookback_scan_determinismE0ELb1ENS0_19wrapped_scan_configINS_14default_configEdEEPdS6_N4RAJA9operators4plusIdddEEddNS0_19lookback_scan_stateIdLb0ELb1EEEEEvT2_T3_mT5_T4_T7_jPT6_SJ_bb
	.p2align	8
	.type	_ZN7rocprim6detail20lookback_scan_kernelILNS0_25lookback_scan_determinismE0ELb1ENS0_19wrapped_scan_configINS_14default_configEdEEPdS6_N4RAJA9operators4plusIdddEEddNS0_19lookback_scan_stateIdLb0ELb1EEEEEvT2_T3_mT5_T4_T7_jPT6_SJ_bb,@function
_ZN7rocprim6detail20lookback_scan_kernelILNS0_25lookback_scan_determinismE0ELb1ENS0_19wrapped_scan_configINS_14default_configEdEEPdS6_N4RAJA9operators4plusIdddEEddNS0_19lookback_scan_stateIdLb0ELb1EEEEEvT2_T3_mT5_T4_T7_jPT6_SJ_bb: ; @_ZN7rocprim6detail20lookback_scan_kernelILNS0_25lookback_scan_determinismE0ELb1ENS0_19wrapped_scan_configINS_14default_configEdEEPdS6_N4RAJA9operators4plusIdddEEddNS0_19lookback_scan_stateIdLb0ELb1EEEEEvT2_T3_mT5_T4_T7_jPT6_SJ_bb
; %bb.0:
	s_load_dword s3, s[0:1], 0x30
	s_load_dwordx8 s[12:19], s[0:1], 0x0
	s_mul_i32 s4, s2, 0xf00
	s_mov_b32 s5, 0
	v_lshlrev_b32_e32 v62, 3, v0
	s_waitcnt lgkmcnt(0)
	s_add_i32 s3, s3, -1
	s_mul_i32 s6, s3, 0xf00
	s_sub_u32 s26, s16, s6
	s_subb_u32 s27, s17, 0
	s_cmp_lg_u32 s2, s3
	s_cselect_b64 s[10:11], -1, 0
	s_lshl_b64 s[16:17], s[4:5], 3
	s_add_u32 s6, s12, s16
	s_addc_u32 s7, s13, s17
	s_mov_b64 s[4:5], -1
	s_and_b64 vcc, exec, s[10:11]
	s_cbranch_vccz .LBB3_2
; %bb.1:
	v_mov_b32_e32 v63, 0
	v_lshl_add_u64 v[2:3], s[6:7], 0, v[62:63]
	v_add_co_u32_e32 v8, vcc, 0x1000, v2
	global_load_dwordx2 v[4:5], v62, s[6:7]
	global_load_dwordx2 v[6:7], v62, s[6:7] offset:2048
	v_addc_co_u32_e32 v9, vcc, 0, v3, vcc
	v_add_co_u32_e32 v10, vcc, 0x2000, v2
	s_mov_b64 s[4:5], 0
	s_nop 0
	v_addc_co_u32_e32 v11, vcc, 0, v3, vcc
	global_load_dwordx2 v[12:13], v[8:9], off
	global_load_dwordx2 v[14:15], v[8:9], off offset:2048
	global_load_dwordx2 v[16:17], v[10:11], off
	global_load_dwordx2 v[18:19], v[10:11], off offset:2048
	v_add_co_u32_e32 v8, vcc, 0x3000, v2
	s_nop 1
	v_addc_co_u32_e32 v9, vcc, 0, v3, vcc
	v_add_co_u32_e32 v10, vcc, 0x4000, v2
	s_nop 1
	v_addc_co_u32_e32 v11, vcc, 0, v3, vcc
	global_load_dwordx2 v[20:21], v[8:9], off
	global_load_dwordx2 v[22:23], v[8:9], off offset:2048
	global_load_dwordx2 v[24:25], v[10:11], off
	global_load_dwordx2 v[26:27], v[10:11], off offset:2048
	v_add_co_u32_e32 v8, vcc, 0x5000, v2
	s_nop 1
	v_addc_co_u32_e32 v9, vcc, 0, v3, vcc
	v_add_co_u32_e32 v10, vcc, 0x6000, v2
	s_nop 1
	v_addc_co_u32_e32 v11, vcc, 0, v3, vcc
	global_load_dwordx2 v[28:29], v[8:9], off
	global_load_dwordx2 v[30:31], v[8:9], off offset:2048
	global_load_dwordx2 v[32:33], v[10:11], off
	global_load_dwordx2 v[34:35], v[10:11], off offset:2048
	v_add_co_u32_e32 v2, vcc, 0x7000, v2
	s_nop 1
	v_addc_co_u32_e32 v3, vcc, 0, v3, vcc
	global_load_dwordx2 v[2:3], v[2:3], off
	s_waitcnt vmcnt(13)
	ds_write2st64_b64 v62, v[4:5], v[6:7] offset1:4
	s_waitcnt vmcnt(11)
	ds_write2st64_b64 v62, v[12:13], v[14:15] offset0:8 offset1:12
	s_waitcnt vmcnt(9)
	ds_write2st64_b64 v62, v[16:17], v[18:19] offset0:16 offset1:20
	;; [unrolled: 2-line block ×6, first 2 shown]
	s_waitcnt vmcnt(0)
	ds_write_b64 v62, v[2:3] offset:28672
	s_waitcnt lgkmcnt(0)
	s_barrier
.LBB3_2:
	s_andn2_b64 vcc, exec, s[4:5]
	v_cmp_gt_u32_e64 s[4:5], s26, v0
	s_cbranch_vccnz .LBB3_34
; %bb.3:
	s_load_dwordx2 s[36:37], s[6:7], 0x0
	v_mov_b32_e32 v63, 0
	v_lshl_add_u64 v[34:35], s[6:7], 0, v[62:63]
	s_waitcnt lgkmcnt(0)
	s_mov_b32 s38, s36
	s_mov_b32 s39, s37
	;; [unrolled: 1-line block ×28, first 2 shown]
	v_mov_b64_e32 v[2:3], s[36:37]
	v_mov_b64_e32 v[4:5], s[38:39]
	;; [unrolled: 1-line block ×16, first 2 shown]
	s_and_saveexec_b64 s[6:7], s[4:5]
	s_cbranch_execz .LBB3_5
; %bb.4:
	global_load_dwordx2 v[2:3], v[34:35], off
	v_mov_b32_e32 v4, s36
	v_mov_b32_e32 v5, s37
	;; [unrolled: 1-line block ×28, first 2 shown]
.LBB3_5:
	s_or_b64 exec, exec, s[6:7]
	v_or_b32_e32 v1, 0x100, v0
	v_cmp_gt_u32_e32 vcc, s26, v1
	s_and_saveexec_b64 s[4:5], vcc
	s_cbranch_execz .LBB3_7
; %bb.6:
	global_load_dwordx2 v[4:5], v[34:35], off offset:2048
.LBB3_7:
	s_or_b64 exec, exec, s[4:5]
	v_or_b32_e32 v1, 0x200, v0
	v_cmp_gt_u32_e32 vcc, s26, v1
	s_and_saveexec_b64 s[4:5], vcc
	s_cbranch_execz .LBB3_9
; %bb.8:
	v_add_co_u32_e32 v6, vcc, 0x1000, v34
	s_nop 1
	v_addc_co_u32_e32 v7, vcc, 0, v35, vcc
	global_load_dwordx2 v[6:7], v[6:7], off
.LBB3_9:
	s_or_b64 exec, exec, s[4:5]
	v_or_b32_e32 v1, 0x300, v0
	v_cmp_gt_u32_e32 vcc, s26, v1
	s_and_saveexec_b64 s[4:5], vcc
	s_cbranch_execz .LBB3_11
; %bb.10:
	v_add_co_u32_e32 v8, vcc, 0x1000, v34
	s_nop 1
	v_addc_co_u32_e32 v9, vcc, 0, v35, vcc
	global_load_dwordx2 v[8:9], v[8:9], off offset:2048
.LBB3_11:
	s_or_b64 exec, exec, s[4:5]
	v_or_b32_e32 v1, 0x400, v0
	v_cmp_gt_u32_e32 vcc, s26, v1
	s_and_saveexec_b64 s[4:5], vcc
	s_cbranch_execz .LBB3_13
; %bb.12:
	v_add_co_u32_e32 v10, vcc, 0x2000, v34
	s_nop 1
	v_addc_co_u32_e32 v11, vcc, 0, v35, vcc
	global_load_dwordx2 v[10:11], v[10:11], off
.LBB3_13:
	s_or_b64 exec, exec, s[4:5]
	v_or_b32_e32 v1, 0x500, v0
	v_cmp_gt_u32_e32 vcc, s26, v1
	s_and_saveexec_b64 s[4:5], vcc
	s_cbranch_execz .LBB3_15
; %bb.14:
	v_add_co_u32_e32 v12, vcc, 0x2000, v34
	s_nop 1
	v_addc_co_u32_e32 v13, vcc, 0, v35, vcc
	global_load_dwordx2 v[12:13], v[12:13], off offset:2048
.LBB3_15:
	;; [unrolled: 22-line block ×6, first 2 shown]
	s_or_b64 exec, exec, s[4:5]
	v_or_b32_e32 v1, 0xe00, v0
	v_cmp_gt_u32_e32 vcc, s26, v1
	s_and_saveexec_b64 s[4:5], vcc
	s_cbranch_execz .LBB3_33
; %bb.32:
	v_add_co_u32_e32 v30, vcc, 0x7000, v34
	s_nop 1
	v_addc_co_u32_e32 v31, vcc, 0, v35, vcc
	global_load_dwordx2 v[30:31], v[30:31], off
.LBB3_33:
	s_or_b64 exec, exec, s[4:5]
	s_waitcnt vmcnt(0)
	ds_write2st64_b64 v62, v[2:3], v[4:5] offset1:4
	ds_write2st64_b64 v62, v[6:7], v[8:9] offset0:8 offset1:12
	ds_write2st64_b64 v62, v[10:11], v[12:13] offset0:16 offset1:20
	;; [unrolled: 1-line block ×6, first 2 shown]
	ds_write_b64 v62, v[30:31] offset:28672
	s_waitcnt lgkmcnt(0)
	s_barrier
.LBB3_34:
	s_load_dwordx2 s[20:21], s[0:1], 0x28
	v_mul_u32_u24_e32 v68, 15, v0
	v_lshlrev_b32_e32 v1, 3, v68
	s_waitcnt lgkmcnt(0)
	ds_read2_b64 v[34:37], v1 offset1:1
	ds_read2_b64 v[38:41], v1 offset0:2 offset1:3
	ds_read2_b64 v[42:45], v1 offset0:4 offset1:5
	;; [unrolled: 1-line block ×6, first 2 shown]
	ds_read_b64 v[64:65], v1 offset:112
	s_waitcnt lgkmcnt(7)
	v_add_f64 v[2:3], v[34:35], v[36:37]
	s_cmp_lg_u32 s2, 0
	s_waitcnt lgkmcnt(6)
	v_add_f64 v[66:67], v[38:39], v[2:3]
	v_lshrrev_b32_e32 v63, 5, v0
	v_cmp_gt_u32_e32 vcc, 64, v0
	s_waitcnt lgkmcnt(0)
	s_barrier
	s_cbranch_scc0 .LBB3_59
; %bb.35:
	v_add_f64 v[2:3], v[40:41], v[66:67]
	v_add_f64 v[2:3], v[42:43], v[2:3]
	;; [unrolled: 1-line block ×12, first 2 shown]
	v_add_lshl_u32 v2, v63, v0, 3
	ds_write_b64 v2, v[10:11]
	s_waitcnt lgkmcnt(0)
	s_barrier
	s_and_saveexec_b64 s[6:7], vcc
	s_cbranch_execz .LBB3_37
; %bb.36:
	v_lshlrev_b32_e32 v2, 2, v0
	v_lshrrev_b32_e32 v3, 3, v0
	v_add_lshl_u32 v16, v3, v2, 3
	ds_read2_b64 v[2:5], v16 offset1:1
	ds_read2_b64 v[6:9], v16 offset0:2 offset1:3
	v_mbcnt_lo_u32_b32 v12, -1, 0
	v_mbcnt_hi_u32_b32 v17, -1, v12
	v_and_b32_e32 v18, 15, v17
	s_waitcnt lgkmcnt(1)
	v_add_f64 v[12:13], v[2:3], v[4:5]
	s_waitcnt lgkmcnt(0)
	v_add_f64 v[12:13], v[12:13], v[6:7]
	v_add_f64 v[12:13], v[12:13], v[8:9]
	v_cmp_eq_u32_e64 s[4:5], 0, v18
	s_nop 0
	v_mov_b32_dpp v14, v12 row_shr:1 row_mask:0xf bank_mask:0xf
	v_mov_b32_dpp v15, v13 row_shr:1 row_mask:0xf bank_mask:0xf
	v_add_f64 v[14:15], v[12:13], v[14:15]
	v_cndmask_b32_e64 v13, v15, v13, s[4:5]
	v_cndmask_b32_e64 v12, v14, v12, s[4:5]
	v_cmp_lt_u32_e64 s[4:5], 1, v18
	v_mov_b32_dpp v15, v13 row_shr:2 row_mask:0xf bank_mask:0xf
	v_mov_b32_dpp v14, v12 row_shr:2 row_mask:0xf bank_mask:0xf
	v_add_f64 v[14:15], v[12:13], v[14:15]
	v_cndmask_b32_e64 v12, v12, v14, s[4:5]
	v_cndmask_b32_e64 v13, v13, v15, s[4:5]
	v_cmp_lt_u32_e64 s[4:5], 3, v18
	;; [unrolled: 6-line block ×3, first 2 shown]
	v_mov_b32_dpp v14, v12 row_shr:8 row_mask:0xf bank_mask:0xf
	v_mov_b32_dpp v15, v13 row_shr:8 row_mask:0xf bank_mask:0xf
	v_add_f64 v[14:15], v[12:13], v[14:15]
	v_cndmask_b32_e64 v12, v12, v14, s[4:5]
	v_cndmask_b32_e64 v13, v13, v15, s[4:5]
	v_and_b32_e32 v18, 16, v17
	v_mov_b32_dpp v14, v12 row_bcast:15 row_mask:0xf bank_mask:0xf
	v_mov_b32_dpp v15, v13 row_bcast:15 row_mask:0xf bank_mask:0xf
	v_add_f64 v[14:15], v[12:13], v[14:15]
	v_cmp_eq_u32_e64 s[4:5], 0, v18
	s_nop 1
	v_cndmask_b32_e64 v13, v15, v13, s[4:5]
	v_cndmask_b32_e64 v12, v14, v12, s[4:5]
	v_cmp_lt_u32_e64 s[4:5], 31, v17
	v_mov_b32_dpp v15, v13 row_bcast:31 row_mask:0xf bank_mask:0xf
	v_mov_b32_dpp v14, v12 row_bcast:31 row_mask:0xf bank_mask:0xf
	v_add_f64 v[14:15], v[12:13], v[14:15]
	v_cndmask_b32_e64 v13, v13, v15, s[4:5]
	v_cndmask_b32_e64 v12, v12, v14, s[4:5]
	v_add_u32_e32 v14, -1, v17
	v_and_b32_e32 v15, 64, v17
	v_cmp_lt_i32_e64 s[4:5], v14, v15
	s_nop 1
	v_cndmask_b32_e64 v14, v14, v17, s[4:5]
	v_lshlrev_b32_e32 v14, 2, v14
	ds_bpermute_b32 v12, v14, v12
	ds_bpermute_b32 v13, v14, v13
	v_cmp_eq_u32_e64 s[4:5], 0, v0
	s_waitcnt lgkmcnt(0)
	v_add_f64 v[2:3], v[2:3], v[12:13]
	v_cndmask_b32_e64 v3, v3, v11, s[4:5]
	v_cndmask_b32_e64 v2, v2, v10, s[4:5]
	v_add_f64 v[4:5], v[4:5], v[2:3]
	ds_write2_b64 v16, v[2:3], v[4:5] offset1:1
	v_add_f64 v[2:3], v[6:7], v[4:5]
	v_add_f64 v[4:5], v[8:9], v[2:3]
	ds_write2_b64 v16, v[2:3], v[4:5] offset0:2 offset1:3
.LBB3_37:
	s_or_b64 exec, exec, s[6:7]
	v_cmp_eq_u32_e64 s[6:7], 0, v0
	v_cmp_ne_u32_e64 s[4:5], 0, v0
	s_waitcnt lgkmcnt(0)
	s_barrier
	s_and_saveexec_b64 s[8:9], s[4:5]
	s_cbranch_execz .LBB3_39
; %bb.38:
	v_add_u32_e32 v2, -1, v0
	v_lshrrev_b32_e32 v3, 5, v2
	v_add_lshl_u32 v2, v3, v2, 3
	ds_read_b64 v[10:11], v2
.LBB3_39:
	s_or_b64 exec, exec, s[8:9]
	s_and_saveexec_b64 s[22:23], vcc
	s_cbranch_execz .LBB3_58
; %bb.40:
	v_mov_b32_e32 v5, 0
	ds_read_b64 v[2:3], v5 offset:2096
	v_mbcnt_lo_u32_b32 v4, -1, 0
	v_mbcnt_hi_u32_b32 v13, -1, v4
	s_mov_b32 s25, 0
	v_cmp_eq_u32_e64 s[4:5], 0, v13
	s_and_saveexec_b64 s[8:9], s[4:5]
	s_cbranch_execz .LBB3_42
; %bb.41:
	s_add_i32 s24, s2, 64
	s_lshl_b64 s[24:25], s[24:25], 4
	s_add_u32 s24, s20, s24
	s_addc_u32 s25, s21, s25
	v_mov_b32_e32 v4, 1
	v_mov_b64_e32 v[6:7], s[24:25]
	s_waitcnt lgkmcnt(0)
	;;#ASMSTART
	global_store_dwordx4 v[6:7], v[2:5] off sc1	
s_waitcnt vmcnt(0)
	;;#ASMEND
.LBB3_42:
	s_or_b64 exec, exec, s[8:9]
	v_xad_u32 v12, v13, -1, s2
	v_add_u32_e32 v4, 64, v12
	v_lshl_add_u64 v[14:15], v[4:5], 4, s[20:21]
	;;#ASMSTART
	global_load_dwordx4 v[6:9], v[14:15] off sc1	
s_waitcnt vmcnt(0)
	;;#ASMEND
	s_nop 0
	v_cmp_eq_u16_sdwa s[24:25], v8, v5 src0_sel:BYTE_0 src1_sel:DWORD
	s_and_saveexec_b64 s[8:9], s[24:25]
	s_cbranch_execz .LBB3_46
; %bb.43:
	s_mov_b64 s[24:25], 0
	v_mov_b32_e32 v4, 0
.LBB3_44:                               ; =>This Inner Loop Header: Depth=1
	;;#ASMSTART
	global_load_dwordx4 v[6:9], v[14:15] off sc1	
s_waitcnt vmcnt(0)
	;;#ASMEND
	s_nop 0
	v_cmp_ne_u16_sdwa s[28:29], v8, v4 src0_sel:BYTE_0 src1_sel:DWORD
	s_or_b64 s[24:25], s[28:29], s[24:25]
	s_andn2_b64 exec, exec, s[24:25]
	s_cbranch_execnz .LBB3_44
; %bb.45:
	s_or_b64 exec, exec, s[24:25]
.LBB3_46:
	s_or_b64 exec, exec, s[8:9]
	v_and_b32_e32 v17, 63, v13
	v_cmp_ne_u32_e32 vcc, 63, v17
	v_mov_b32_e32 v18, 2
	v_cmp_eq_u16_sdwa s[8:9], v8, v18 src0_sel:BYTE_0 src1_sel:DWORD
	v_addc_co_u32_e32 v14, vcc, 0, v13, vcc
	v_lshlrev_b64 v[4:5], v13, -1
	v_lshlrev_b32_e32 v19, 2, v14
	v_and_b32_e32 v9, s9, v5
	ds_bpermute_b32 v14, v19, v6
	ds_bpermute_b32 v15, v19, v7
	v_or_b32_e32 v9, 0x80000000, v9
	v_and_b32_e32 v16, s8, v4
	v_ffbl_b32_e32 v9, v9
	v_add_u32_e32 v9, 32, v9
	v_ffbl_b32_e32 v16, v16
	v_min_u32_e32 v9, v16, v9
	v_add_u32_e32 v20, 1, v13
	s_waitcnt lgkmcnt(0)
	v_add_f64 v[14:15], v[6:7], v[14:15]
	v_cmp_gt_u32_e32 vcc, v20, v9
	v_add_u32_e32 v22, 2, v13
	v_add_u32_e32 v24, 4, v13
	v_cndmask_b32_e32 v6, v14, v6, vcc
	v_cndmask_b32_e32 v7, v15, v7, vcc
	v_cmp_gt_u32_e32 vcc, 62, v17
	v_add_u32_e32 v26, 8, v13
	v_add_u32_e32 v28, 16, v13
	v_cndmask_b32_e64 v14, 0, 1, vcc
	v_lshlrev_b32_e32 v14, 1, v14
	v_add_lshl_u32 v21, v14, v13, 2
	ds_bpermute_b32 v14, v21, v6
	ds_bpermute_b32 v15, v21, v7
	v_cmp_gt_u32_e32 vcc, v22, v9
	v_cmp_gt_u32_e64 s[8:9], 32, v17
	v_add_u32_e32 v30, 32, v13
	s_waitcnt lgkmcnt(0)
	v_add_f64 v[14:15], v[6:7], v[14:15]
	v_cndmask_b32_e32 v6, v14, v6, vcc
	v_cndmask_b32_e32 v7, v15, v7, vcc
	v_cmp_gt_u32_e32 vcc, 60, v17
	s_nop 1
	v_cndmask_b32_e64 v14, 0, 1, vcc
	v_lshlrev_b32_e32 v14, 2, v14
	v_add_lshl_u32 v23, v14, v13, 2
	ds_bpermute_b32 v14, v23, v6
	ds_bpermute_b32 v15, v23, v7
	v_cmp_gt_u32_e32 vcc, v24, v9
	s_waitcnt lgkmcnt(0)
	v_add_f64 v[14:15], v[6:7], v[14:15]
	v_cndmask_b32_e32 v6, v14, v6, vcc
	v_cndmask_b32_e32 v7, v15, v7, vcc
	v_cmp_gt_u32_e32 vcc, 56, v17
	s_nop 1
	v_cndmask_b32_e64 v14, 0, 1, vcc
	v_lshlrev_b32_e32 v14, 3, v14
	v_add_lshl_u32 v25, v14, v13, 2
	ds_bpermute_b32 v14, v25, v6
	ds_bpermute_b32 v15, v25, v7
	v_cmp_gt_u32_e32 vcc, v26, v9
	;; [unrolled: 12-line block ×3, first 2 shown]
	s_waitcnt lgkmcnt(0)
	v_add_f64 v[14:15], v[6:7], v[14:15]
	v_cndmask_b32_e32 v6, v14, v6, vcc
	v_cndmask_b32_e64 v14, 0, 1, s[8:9]
	v_lshlrev_b32_e32 v14, 5, v14
	v_add_lshl_u32 v29, v14, v13, 2
	v_cndmask_b32_e32 v7, v15, v7, vcc
	ds_bpermute_b32 v14, v29, v6
	ds_bpermute_b32 v15, v29, v7
	v_cmp_gt_u32_e32 vcc, v30, v9
	v_mov_b32_e32 v13, 0
	s_waitcnt lgkmcnt(0)
	v_add_f64 v[14:15], v[6:7], v[14:15]
	v_cndmask_b32_e32 v7, v15, v7, vcc
	v_cndmask_b32_e32 v6, v14, v6, vcc
	s_branch .LBB3_48
.LBB3_47:                               ;   in Loop: Header=BB3_48 Depth=1
	s_or_b64 exec, exec, s[8:9]
	v_cmp_eq_u16_sdwa s[8:9], v8, v18 src0_sel:BYTE_0 src1_sel:DWORD
	ds_bpermute_b32 v16, v19, v6
	ds_bpermute_b32 v17, v19, v7
	v_and_b32_e32 v9, s9, v5
	v_or_b32_e32 v9, 0x80000000, v9
	v_and_b32_e32 v31, s8, v4
	v_ffbl_b32_e32 v9, v9
	v_add_u32_e32 v9, 32, v9
	v_ffbl_b32_e32 v31, v31
	v_min_u32_e32 v9, v31, v9
	s_waitcnt lgkmcnt(0)
	v_add_f64 v[16:17], v[6:7], v[16:17]
	v_cmp_gt_u32_e32 vcc, v20, v9
	v_subrev_u32_e32 v12, 64, v12
	s_nop 0
	v_cndmask_b32_e32 v6, v16, v6, vcc
	v_cndmask_b32_e32 v7, v17, v7, vcc
	ds_bpermute_b32 v16, v21, v6
	ds_bpermute_b32 v17, v21, v7
	v_cmp_gt_u32_e32 vcc, v22, v9
	s_waitcnt lgkmcnt(0)
	v_add_f64 v[16:17], v[6:7], v[16:17]
	v_cndmask_b32_e32 v6, v16, v6, vcc
	v_cndmask_b32_e32 v7, v17, v7, vcc
	ds_bpermute_b32 v16, v23, v6
	ds_bpermute_b32 v17, v23, v7
	v_cmp_gt_u32_e32 vcc, v24, v9
	s_waitcnt lgkmcnt(0)
	v_add_f64 v[16:17], v[6:7], v[16:17]
	;; [unrolled: 7-line block ×5, first 2 shown]
	v_cndmask_b32_e32 v7, v17, v7, vcc
	v_cndmask_b32_e32 v6, v16, v6, vcc
	v_add_f64 v[6:7], v[14:15], v[6:7]
.LBB3_48:                               ; =>This Loop Header: Depth=1
                                        ;     Child Loop BB3_51 Depth 2
	v_cmp_ne_u16_sdwa s[8:9], v8, v18 src0_sel:BYTE_0 src1_sel:DWORD
	v_mov_b64_e32 v[14:15], v[6:7]
	s_nop 0
	v_cndmask_b32_e64 v8, 0, 1, s[8:9]
	;;#ASMSTART
	;;#ASMEND
	s_nop 0
	v_cmp_ne_u32_e32 vcc, 0, v8
	s_cmp_lg_u64 vcc, exec
	s_cbranch_scc1 .LBB3_53
; %bb.49:                               ;   in Loop: Header=BB3_48 Depth=1
	v_lshl_add_u64 v[16:17], v[12:13], 4, s[20:21]
	;;#ASMSTART
	global_load_dwordx4 v[6:9], v[16:17] off sc1	
s_waitcnt vmcnt(0)
	;;#ASMEND
	s_nop 0
	v_cmp_eq_u16_sdwa s[24:25], v8, v13 src0_sel:BYTE_0 src1_sel:DWORD
	s_and_saveexec_b64 s[8:9], s[24:25]
	s_cbranch_execz .LBB3_47
; %bb.50:                               ;   in Loop: Header=BB3_48 Depth=1
	s_mov_b64 s[24:25], 0
.LBB3_51:                               ;   Parent Loop BB3_48 Depth=1
                                        ; =>  This Inner Loop Header: Depth=2
	;;#ASMSTART
	global_load_dwordx4 v[6:9], v[16:17] off sc1	
s_waitcnt vmcnt(0)
	;;#ASMEND
	s_nop 0
	v_cmp_ne_u16_sdwa s[28:29], v8, v13 src0_sel:BYTE_0 src1_sel:DWORD
	s_or_b64 s[24:25], s[28:29], s[24:25]
	s_andn2_b64 exec, exec, s[24:25]
	s_cbranch_execnz .LBB3_51
; %bb.52:                               ;   in Loop: Header=BB3_48 Depth=1
	s_or_b64 exec, exec, s[24:25]
	s_branch .LBB3_47
.LBB3_53:                               ;   in Loop: Header=BB3_48 Depth=1
                                        ; implicit-def: $vgpr6_vgpr7
                                        ; implicit-def: $vgpr8
	s_cbranch_execz .LBB3_48
; %bb.54:
	s_and_saveexec_b64 s[8:9], s[4:5]
	s_cbranch_execz .LBB3_56
; %bb.55:
	s_add_i32 s2, s2, 64
	s_mov_b32 s3, 0
	s_lshl_b64 s[2:3], s[2:3], 4
	s_add_u32 s2, s20, s2
	s_addc_u32 s3, s21, s3
	v_add_f64 v[2:3], v[2:3], v[14:15]
	v_mov_b32_e32 v4, 2
	v_mov_b32_e32 v5, 0
	v_mov_b64_e32 v[6:7], s[2:3]
	;;#ASMSTART
	global_store_dwordx4 v[6:7], v[2:5] off sc1	
s_waitcnt vmcnt(0)
	;;#ASMEND
.LBB3_56:
	s_or_b64 exec, exec, s[8:9]
	s_and_b64 exec, exec, s[6:7]
	s_cbranch_execz .LBB3_58
; %bb.57:
	v_mov_b32_e32 v2, 0
	ds_write_b64 v2, v[14:15]
.LBB3_58:
	s_or_b64 exec, exec, s[22:23]
	v_mov_b32_e32 v2, 0
	s_waitcnt lgkmcnt(0)
	s_barrier
	ds_read_b64 v[2:3], v2
	s_waitcnt lgkmcnt(0)
	v_add_f64 v[4:5], v[10:11], v[2:3]
	v_cndmask_b32_e64 v3, v5, v3, s[6:7]
	v_cndmask_b32_e64 v2, v4, v2, s[6:7]
	v_add_f64 v[4:5], v[34:35], v[2:3]
	v_add_f64 v[6:7], v[36:37], v[4:5]
	;; [unrolled: 1-line block ×14, first 2 shown]
	s_load_dwordx4 s[4:7], s[0:1], 0x38
	s_branch .LBB3_69
.LBB3_59:
                                        ; implicit-def: $vgpr2_vgpr3_vgpr4_vgpr5_vgpr6_vgpr7_vgpr8_vgpr9_vgpr10_vgpr11_vgpr12_vgpr13_vgpr14_vgpr15_vgpr16_vgpr17_vgpr18_vgpr19_vgpr20_vgpr21_vgpr22_vgpr23_vgpr24_vgpr25_vgpr26_vgpr27_vgpr28_vgpr29_vgpr30_vgpr31_vgpr32_vgpr33
	s_load_dwordx4 s[4:7], s[0:1], 0x38
	s_cbranch_execz .LBB3_69
; %bb.60:
	s_load_dword s2, s[0:1], 0x48
	v_mov_b64_e32 v[32:33], s[18:19]
	s_waitcnt lgkmcnt(0)
	s_bitcmp0_b32 s2, 0
	s_cbranch_scc1 .LBB3_62
; %bb.61:
	s_add_u32 s2, s12, -8
	s_addc_u32 s3, s13, -1
	s_load_dwordx2 s[8:9], s[4:5], 0x0
	s_load_dwordx2 s[12:13], s[2:3], 0x0
	s_waitcnt lgkmcnt(0)
	v_mov_b64_e32 v[2:3], s[8:9]
	v_add_f64 v[32:33], s[12:13], v[2:3]
.LBB3_62:
	v_add_f64 v[2:3], v[40:41], v[66:67]
	v_add_f64 v[2:3], v[42:43], v[2:3]
	;; [unrolled: 1-line block ×12, first 2 shown]
	v_add_lshl_u32 v4, v63, v0, 3
	v_cmp_gt_u32_e32 vcc, 64, v0
	ds_write_b64 v4, v[2:3]
	s_waitcnt lgkmcnt(0)
	s_barrier
	s_and_saveexec_b64 s[2:3], vcc
	s_cbranch_execz .LBB3_64
; %bb.63:
	v_lshlrev_b32_e32 v4, 2, v0
	v_lshrrev_b32_e32 v5, 3, v0
	v_add_lshl_u32 v16, v5, v4, 3
	ds_read2_b64 v[4:7], v16 offset1:1
	ds_read2_b64 v[8:11], v16 offset0:2 offset1:3
	v_mbcnt_lo_u32_b32 v12, -1, 0
	v_mbcnt_hi_u32_b32 v17, -1, v12
	v_and_b32_e32 v18, 15, v17
	s_waitcnt lgkmcnt(1)
	v_add_f64 v[12:13], v[4:5], v[6:7]
	s_waitcnt lgkmcnt(0)
	v_add_f64 v[12:13], v[12:13], v[8:9]
	v_add_f64 v[12:13], v[12:13], v[10:11]
	v_cmp_eq_u32_e32 vcc, 0, v18
	s_nop 0
	v_mov_b32_dpp v14, v12 row_shr:1 row_mask:0xf bank_mask:0xf
	v_mov_b32_dpp v15, v13 row_shr:1 row_mask:0xf bank_mask:0xf
	v_add_f64 v[14:15], v[12:13], v[14:15]
	v_cndmask_b32_e32 v13, v15, v13, vcc
	v_cndmask_b32_e32 v12, v14, v12, vcc
	v_cmp_lt_u32_e32 vcc, 1, v18
	v_mov_b32_dpp v15, v13 row_shr:2 row_mask:0xf bank_mask:0xf
	v_mov_b32_dpp v14, v12 row_shr:2 row_mask:0xf bank_mask:0xf
	v_add_f64 v[14:15], v[12:13], v[14:15]
	v_cndmask_b32_e32 v12, v12, v14, vcc
	v_cndmask_b32_e32 v13, v13, v15, vcc
	v_cmp_lt_u32_e32 vcc, 3, v18
	;; [unrolled: 6-line block ×3, first 2 shown]
	v_mov_b32_dpp v14, v12 row_shr:8 row_mask:0xf bank_mask:0xf
	v_mov_b32_dpp v15, v13 row_shr:8 row_mask:0xf bank_mask:0xf
	v_add_f64 v[14:15], v[12:13], v[14:15]
	v_cndmask_b32_e32 v12, v12, v14, vcc
	v_cndmask_b32_e32 v13, v13, v15, vcc
	v_and_b32_e32 v18, 16, v17
	v_mov_b32_dpp v14, v12 row_bcast:15 row_mask:0xf bank_mask:0xf
	v_mov_b32_dpp v15, v13 row_bcast:15 row_mask:0xf bank_mask:0xf
	v_add_f64 v[14:15], v[12:13], v[14:15]
	v_cmp_eq_u32_e32 vcc, 0, v18
	s_nop 1
	v_cndmask_b32_e32 v13, v15, v13, vcc
	v_cndmask_b32_e32 v12, v14, v12, vcc
	v_cmp_lt_u32_e32 vcc, 31, v17
	v_mov_b32_dpp v15, v13 row_bcast:31 row_mask:0xf bank_mask:0xf
	v_mov_b32_dpp v14, v12 row_bcast:31 row_mask:0xf bank_mask:0xf
	v_add_f64 v[14:15], v[12:13], v[14:15]
	v_cndmask_b32_e32 v13, v13, v15, vcc
	v_cndmask_b32_e32 v12, v12, v14, vcc
	v_add_u32_e32 v14, -1, v17
	v_and_b32_e32 v15, 64, v17
	v_cmp_lt_i32_e32 vcc, v14, v15
	s_nop 1
	v_cndmask_b32_e32 v14, v14, v17, vcc
	v_lshlrev_b32_e32 v14, 2, v14
	ds_bpermute_b32 v12, v14, v12
	ds_bpermute_b32 v13, v14, v13
	v_cmp_eq_u32_e32 vcc, 0, v0
	s_waitcnt lgkmcnt(0)
	v_add_f64 v[4:5], v[4:5], v[12:13]
	v_cndmask_b32_e32 v3, v5, v3, vcc
	v_cndmask_b32_e32 v2, v4, v2, vcc
	v_add_f64 v[4:5], v[6:7], v[2:3]
	ds_write2_b64 v16, v[2:3], v[4:5] offset1:1
	v_add_f64 v[2:3], v[8:9], v[4:5]
	v_add_f64 v[4:5], v[10:11], v[2:3]
	ds_write2_b64 v16, v[2:3], v[4:5] offset0:2 offset1:3
.LBB3_64:
	s_or_b64 exec, exec, s[2:3]
	v_cmp_eq_u32_e32 vcc, 0, v0
	v_cmp_ne_u32_e64 s[2:3], 0, v0
	v_mov_b64_e32 v[2:3], v[32:33]
	s_waitcnt lgkmcnt(0)
	s_barrier
	s_and_saveexec_b64 s[4:5], s[2:3]
	s_cbranch_execz .LBB3_66
; %bb.65:
	v_add_u32_e32 v2, -1, v0
	v_lshrrev_b32_e32 v3, 5, v2
	v_add_lshl_u32 v2, v3, v2, 3
	ds_read_b64 v[2:3], v2
	s_waitcnt lgkmcnt(0)
	v_add_f64 v[2:3], v[32:33], v[2:3]
.LBB3_66:
	s_or_b64 exec, exec, s[4:5]
	v_add_f64 v[4:5], v[34:35], v[2:3]
	v_add_f64 v[6:7], v[36:37], v[4:5]
	;; [unrolled: 1-line block ×14, first 2 shown]
	s_and_saveexec_b64 s[2:3], vcc
	s_cbranch_execz .LBB3_68
; %bb.67:
	v_mov_b32_e32 v35, 0
	ds_read_b64 v[36:37], v35 offset:2096
	s_add_u32 s4, s20, 0x400
	s_addc_u32 s5, s21, 0
	v_mov_b32_e32 v34, 2
	s_waitcnt lgkmcnt(0)
	v_add_f64 v[32:33], v[32:33], v[36:37]
	v_mov_b64_e32 v[36:37], s[4:5]
	;;#ASMSTART
	global_store_dwordx4 v[36:37], v[32:35] off sc1	
s_waitcnt vmcnt(0)
	;;#ASMEND
.LBB3_68:
	s_or_b64 exec, exec, s[2:3]
.LBB3_69:
	s_add_u32 s2, s14, s16
	s_addc_u32 s3, s15, s17
	s_waitcnt lgkmcnt(0)
	s_mov_b64 s[4:5], -1
	s_and_b64 vcc, exec, s[10:11]
	s_barrier
	s_cbranch_vccz .LBB3_71
; %bb.70:
	v_mul_u32_u24_e32 v32, 0x78, v0
	s_movk_i32 s4, 0x78
	ds_write2_b64 v32, v[2:3], v[4:5] offset1:1
	ds_write2_b64 v32, v[6:7], v[8:9] offset0:2 offset1:3
	ds_write2_b64 v32, v[10:11], v[12:13] offset0:4 offset1:5
	ds_write2_b64 v32, v[14:15], v[16:17] offset0:6 offset1:7
	ds_write2_b64 v32, v[18:19], v[20:21] offset0:8 offset1:9
	ds_write2_b64 v32, v[22:23], v[24:25] offset0:10 offset1:11
	ds_write2_b64 v32, v[26:27], v[28:29] offset0:12 offset1:13
	ds_write_b64 v32, v[30:31] offset:112
	v_mul_i32_i24_e32 v32, 0xffffff90, v0
	v_mad_u32_u24 v60, v0, s4, v32
	v_mov_b32_e32 v63, 0
	s_waitcnt lgkmcnt(0)
	s_barrier
	ds_read2st64_b64 v[32:35], v60 offset1:4
	ds_read2st64_b64 v[36:39], v60 offset0:8 offset1:12
	ds_read2st64_b64 v[40:43], v60 offset0:16 offset1:20
	;; [unrolled: 1-line block ×6, first 2 shown]
	ds_read_b64 v[60:61], v60 offset:28672
	v_lshl_add_u64 v[64:65], s[2:3], 0, v[62:63]
	s_movk_i32 s4, 0x1000
	s_waitcnt lgkmcnt(7)
	global_store_dwordx2 v62, v[32:33], s[2:3]
	global_store_dwordx2 v62, v[34:35], s[2:3] offset:2048
	v_add_co_u32_e32 v32, vcc, s4, v64
	s_movk_i32 s4, 0x2000
	s_nop 0
	v_addc_co_u32_e32 v33, vcc, 0, v65, vcc
	v_add_co_u32_e32 v34, vcc, s4, v64
	s_movk_i32 s4, 0x3000
	s_nop 0
	v_addc_co_u32_e32 v35, vcc, 0, v65, vcc
	s_waitcnt lgkmcnt(6)
	global_store_dwordx2 v[34:35], v[36:37], off offset:-4096
	global_store_dwordx2 v[32:33], v[38:39], off offset:2048
	s_waitcnt lgkmcnt(5)
	global_store_dwordx2 v[34:35], v[40:41], off
	global_store_dwordx2 v[34:35], v[42:43], off offset:2048
	v_add_co_u32_e32 v32, vcc, s4, v64
	s_movk_i32 s4, 0x4000
	s_nop 0
	v_addc_co_u32_e32 v33, vcc, 0, v65, vcc
	v_add_co_u32_e32 v34, vcc, s4, v64
	s_movk_i32 s4, 0x5000
	s_nop 0
	v_addc_co_u32_e32 v35, vcc, 0, v65, vcc
	s_waitcnt lgkmcnt(4)
	global_store_dwordx2 v[34:35], v[44:45], off offset:-4096
	global_store_dwordx2 v[32:33], v[46:47], off offset:2048
	s_waitcnt lgkmcnt(3)
	global_store_dwordx2 v[34:35], v[48:49], off
	global_store_dwordx2 v[34:35], v[50:51], off offset:2048
	v_add_co_u32_e32 v32, vcc, s4, v64
	s_mov_b64 s[4:5], 0
	s_nop 0
	v_addc_co_u32_e32 v33, vcc, 0, v65, vcc
	s_waitcnt lgkmcnt(2)
	global_store_dwordx2 v[32:33], v[52:53], off
	global_store_dwordx2 v[32:33], v[54:55], off offset:2048
	v_add_co_u32_e32 v32, vcc, 0x6000, v64
	s_nop 1
	v_addc_co_u32_e32 v33, vcc, 0, v65, vcc
	s_waitcnt lgkmcnt(1)
	global_store_dwordx2 v[32:33], v[56:57], off
	global_store_dwordx2 v[32:33], v[58:59], off offset:2048
	v_add_co_u32_e32 v32, vcc, 0x7000, v64
	s_nop 1
	v_addc_co_u32_e32 v33, vcc, 0, v65, vcc
	s_waitcnt lgkmcnt(0)
	global_store_dwordx2 v[32:33], v[60:61], off
.LBB3_71:
	s_andn2_b64 vcc, exec, s[4:5]
	s_cbranch_vccnz .LBB3_157
; %bb.72:
	s_movk_i32 s4, 0xff90
	ds_write2_b64 v1, v[2:3], v[4:5] offset1:1
	ds_write2_b64 v1, v[6:7], v[8:9] offset0:2 offset1:3
	ds_write2_b64 v1, v[10:11], v[12:13] offset0:4 offset1:5
	;; [unrolled: 1-line block ×6, first 2 shown]
	ds_write_b64 v1, v[30:31] offset:112
	v_mad_i32_i24 v1, v0, s4, v1
	s_waitcnt lgkmcnt(0)
	s_barrier
	ds_read2st64_b64 v[6:9], v1 offset1:4
	ds_read2st64_b64 v[14:17], v1 offset0:8 offset1:12
	ds_read2st64_b64 v[10:13], v1 offset0:16 offset1:20
	ds_read2st64_b64 v[26:29], v1 offset0:24 offset1:28
	ds_read2st64_b64 v[18:21], v1 offset0:32 offset1:36
	ds_read2st64_b64 v[2:5], v1 offset0:40 offset1:44
	ds_read2st64_b64 v[22:25], v1 offset0:48 offset1:52
	ds_read_b64 v[30:31], v1 offset:28672
	v_mov_b32_e32 v63, 0
	v_lshl_add_u64 v[32:33], s[2:3], 0, v[62:63]
	v_cmp_gt_u32_e32 vcc, s26, v0
	s_and_saveexec_b64 s[2:3], vcc
	s_cbranch_execz .LBB3_74
; %bb.73:
	s_waitcnt lgkmcnt(7)
	global_store_dwordx2 v[32:33], v[6:7], off
.LBB3_74:
	s_or_b64 exec, exec, s[2:3]
	v_or_b32_e32 v1, 0x100, v0
	v_cmp_gt_u32_e32 vcc, s26, v1
	s_and_saveexec_b64 s[2:3], vcc
	s_cbranch_execz .LBB3_76
; %bb.75:
	s_waitcnt lgkmcnt(7)
	global_store_dwordx2 v[32:33], v[8:9], off offset:2048
.LBB3_76:
	s_or_b64 exec, exec, s[2:3]
	v_or_b32_e32 v1, 0x200, v0
	v_cmp_gt_u32_e32 vcc, s26, v1
	s_and_saveexec_b64 s[2:3], vcc
	s_cbranch_execz .LBB3_78
; %bb.77:
	v_add_co_u32_e32 v34, vcc, 0x1000, v32
	s_nop 1
	v_addc_co_u32_e32 v35, vcc, 0, v33, vcc
	s_waitcnt lgkmcnt(6)
	global_store_dwordx2 v[34:35], v[14:15], off
.LBB3_78:
	s_or_b64 exec, exec, s[2:3]
	v_or_b32_e32 v1, 0x300, v0
	v_cmp_gt_u32_e32 vcc, s26, v1
	s_and_saveexec_b64 s[2:3], vcc
	s_cbranch_execz .LBB3_80
; %bb.79:
	v_add_co_u32_e32 v34, vcc, 0x1000, v32
	s_nop 1
	v_addc_co_u32_e32 v35, vcc, 0, v33, vcc
	s_waitcnt lgkmcnt(6)
	global_store_dwordx2 v[34:35], v[16:17], off offset:2048
.LBB3_80:
	s_or_b64 exec, exec, s[2:3]
	v_or_b32_e32 v1, 0x400, v0
	v_cmp_gt_u32_e32 vcc, s26, v1
	s_and_saveexec_b64 s[2:3], vcc
	s_cbranch_execz .LBB3_82
; %bb.81:
	v_add_co_u32_e32 v34, vcc, 0x2000, v32
	s_nop 1
	v_addc_co_u32_e32 v35, vcc, 0, v33, vcc
	s_waitcnt lgkmcnt(5)
	global_store_dwordx2 v[34:35], v[10:11], off
.LBB3_82:
	s_or_b64 exec, exec, s[2:3]
	v_or_b32_e32 v1, 0x500, v0
	v_cmp_gt_u32_e32 vcc, s26, v1
	s_and_saveexec_b64 s[2:3], vcc
	s_cbranch_execz .LBB3_84
; %bb.83:
	v_add_co_u32_e32 v34, vcc, 0x2000, v32
	s_nop 1
	v_addc_co_u32_e32 v35, vcc, 0, v33, vcc
	s_waitcnt lgkmcnt(5)
	global_store_dwordx2 v[34:35], v[12:13], off offset:2048
.LBB3_84:
	;; [unrolled: 24-line block ×6, first 2 shown]
	s_or_b64 exec, exec, s[2:3]
	v_or_b32_e32 v1, 0xe00, v0
	v_cmp_gt_u32_e32 vcc, s26, v1
	s_and_saveexec_b64 s[2:3], vcc
	s_cbranch_execz .LBB3_102
; %bb.101:
	v_add_co_u32_e32 v32, vcc, 0x7000, v32
	s_nop 1
	v_addc_co_u32_e32 v33, vcc, 0, v33, vcc
	s_waitcnt lgkmcnt(0)
	global_store_dwordx2 v[32:33], v[30:31], off
.LBB3_102:
	s_or_b64 exec, exec, s[2:3]
	s_load_dword s0, s[0:1], 0x48
	s_waitcnt lgkmcnt(0)
	s_bfe_u32 s0, s0, 0x10008
	s_cmp_eq_u32 s0, 0
	s_cbranch_scc1 .LBB3_157
; %bb.103:
	s_add_u32 s0, s26, -1
	s_addc_u32 s1, s27, -1
	s_add_u32 s2, 0, 0x11108400
	s_addc_u32 s3, 0, 49
	s_add_i32 s3, s3, 0x111110e0
	s_mul_hi_u32 s9, s2, -15
	s_sub_i32 s9, s9, s2
	s_mul_i32 s10, s3, -15
	s_mul_i32 s4, s2, -15
	s_add_i32 s9, s9, s10
	s_mul_hi_u32 s5, s3, s4
	s_mul_i32 s8, s3, s4
	s_mul_i32 s11, s2, s9
	s_mul_hi_u32 s4, s2, s4
	s_mul_hi_u32 s10, s2, s9
	s_add_u32 s4, s4, s11
	s_addc_u32 s10, 0, s10
	s_add_u32 s4, s4, s8
	s_mul_hi_u32 s11, s3, s9
	s_addc_u32 s4, s10, s5
	s_addc_u32 s5, s11, 0
	s_mul_i32 s8, s3, s9
	s_add_u32 s4, s4, s8
	v_mov_b32_e32 v32, s4
	s_addc_u32 s5, 0, s5
	v_add_co_u32_e32 v32, vcc, s2, v32
	s_cmp_lg_u64 vcc, 0
	s_addc_u32 s2, s3, s5
	v_readfirstlane_b32 s5, v32
	s_mul_i32 s4, s0, s2
	s_mul_hi_u32 s8, s0, s5
	s_mul_hi_u32 s3, s0, s2
	s_add_u32 s4, s8, s4
	s_addc_u32 s3, 0, s3
	s_mul_hi_u32 s9, s1, s5
	s_mul_i32 s5, s1, s5
	s_add_u32 s4, s4, s5
	s_mul_hi_u32 s8, s1, s2
	s_addc_u32 s3, s3, s9
	s_addc_u32 s4, s8, 0
	s_mul_i32 s2, s1, s2
	s_add_u32 s2, s3, s2
	s_addc_u32 s3, 0, s4
	s_add_u32 s4, s2, 1
	s_addc_u32 s5, s3, 0
	s_add_u32 s8, s2, 2
	s_mul_i32 s10, s3, 15
	s_mul_hi_u32 s11, s2, 15
	s_addc_u32 s9, s3, 0
	s_add_i32 s11, s11, s10
	s_mul_i32 s10, s2, 15
	v_mov_b32_e32 v32, s10
	v_sub_co_u32_e32 v32, vcc, s0, v32
	s_cmp_lg_u64 vcc, 0
	s_subb_u32 s10, s1, s11
	v_subrev_co_u32_e32 v33, vcc, 15, v32
	s_cmp_lg_u64 vcc, 0
	s_subb_u32 s11, s10, 0
	v_readfirstlane_b32 s12, v33
	s_cmp_gt_u32 s12, 14
	s_cselect_b32 s12, -1, 0
	s_cmp_eq_u32 s11, 0
	s_cselect_b32 s11, s12, -1
	s_cmp_lg_u32 s11, 0
	s_cselect_b32 s4, s8, s4
	v_readfirstlane_b32 s8, v32
	s_cselect_b32 s5, s9, s5
	s_cmp_gt_u32 s8, 14
	s_cselect_b32 s8, -1, 0
	s_cmp_eq_u32 s10, 0
	s_cselect_b32 s8, s8, -1
	s_cmp_lg_u32 s8, 0
	v_mov_b32_e32 v1, v63
	s_cselect_b32 s3, s5, s3
	s_cselect_b32 s2, s4, s2
	v_cmp_eq_u64_e32 vcc, s[2:3], v[0:1]
	s_and_saveexec_b64 s[2:3], vcc
	s_cbranch_execz .LBB3_157
; %bb.104:
	v_mul_hi_u32_u24_e32 v1, 15, v0
	v_mov_b32_e32 v32, s1
	v_sub_co_u32_e32 v0, vcc, s0, v68
	s_nop 1
	v_subb_co_u32_e32 v1, vcc, v32, v1, vcc
	v_cmp_lt_i64_e32 vcc, 7, v[0:1]
	s_and_saveexec_b64 s[0:1], vcc
	s_xor_b64 s[0:1], exec, s[0:1]
	s_cbranch_execz .LBB3_130
; %bb.105:
	v_cmp_lt_i64_e32 vcc, 10, v[0:1]
	s_and_saveexec_b64 s[2:3], vcc
	s_xor_b64 s[2:3], exec, s[2:3]
	s_cbranch_execz .LBB3_119
; %bb.106:
	;; [unrolled: 5-line block ×4, first 2 shown]
	v_mov_b32_e32 v0, 0
	global_store_dwordx2 v0, v[30:31], s[6:7]
                                        ; implicit-def: $vgpr22_vgpr23_vgpr24_vgpr25
.LBB3_109:
	s_andn2_saveexec_b64 s[8:9], s[8:9]
	s_cbranch_execz .LBB3_111
; %bb.110:
	v_mov_b32_e32 v0, 0
	global_store_dwordx2 v0, v[24:25], s[6:7]
.LBB3_111:
	s_or_b64 exec, exec, s[8:9]
                                        ; implicit-def: $vgpr2_vgpr3_vgpr4_vgpr5
                                        ; implicit-def: $vgpr0_vgpr1
                                        ; implicit-def: $vgpr22_vgpr23_vgpr24_vgpr25
.LBB3_112:
	s_andn2_saveexec_b64 s[4:5], s[4:5]
	s_cbranch_execz .LBB3_118
; %bb.113:
	v_cmp_lt_i64_e32 vcc, 11, v[0:1]
	s_and_saveexec_b64 s[8:9], vcc
	s_xor_b64 s[8:9], exec, s[8:9]
	s_cbranch_execz .LBB3_115
; %bb.114:
	v_mov_b32_e32 v0, 0
	global_store_dwordx2 v0, v[22:23], s[6:7]
                                        ; implicit-def: $vgpr2_vgpr3_vgpr4_vgpr5
.LBB3_115:
	s_andn2_saveexec_b64 s[8:9], s[8:9]
	s_cbranch_execz .LBB3_117
; %bb.116:
	v_mov_b32_e32 v0, 0
	global_store_dwordx2 v0, v[4:5], s[6:7]
.LBB3_117:
	s_or_b64 exec, exec, s[8:9]
.LBB3_118:
	s_or_b64 exec, exec, s[4:5]
                                        ; implicit-def: $vgpr18_vgpr19_vgpr20_vgpr21
                                        ; implicit-def: $vgpr0_vgpr1
                                        ; implicit-def: $vgpr2_vgpr3_vgpr4_vgpr5
.LBB3_119:
	s_andn2_saveexec_b64 s[2:3], s[2:3]
	s_cbranch_execz .LBB3_129
; %bb.120:
	v_cmp_lt_i64_e32 vcc, 8, v[0:1]
	s_and_saveexec_b64 s[4:5], vcc
	s_xor_b64 s[4:5], exec, s[4:5]
	s_cbranch_execz .LBB3_126
; %bb.121:
	v_cmp_lt_i64_e32 vcc, 9, v[0:1]
	s_and_saveexec_b64 s[8:9], vcc
	s_xor_b64 s[8:9], exec, s[8:9]
	s_cbranch_execz .LBB3_123
; %bb.122:
	v_mov_b32_e32 v0, 0
	global_store_dwordx2 v0, v[2:3], s[6:7]
                                        ; implicit-def: $vgpr18_vgpr19_vgpr20_vgpr21
.LBB3_123:
	s_andn2_saveexec_b64 s[8:9], s[8:9]
	s_cbranch_execz .LBB3_125
; %bb.124:
	v_mov_b32_e32 v0, 0
	global_store_dwordx2 v0, v[20:21], s[6:7]
.LBB3_125:
	s_or_b64 exec, exec, s[8:9]
                                        ; implicit-def: $vgpr18_vgpr19_vgpr20_vgpr21
.LBB3_126:
	s_andn2_saveexec_b64 s[4:5], s[4:5]
	s_cbranch_execz .LBB3_128
; %bb.127:
	v_mov_b32_e32 v0, 0
	global_store_dwordx2 v0, v[18:19], s[6:7]
.LBB3_128:
	s_or_b64 exec, exec, s[4:5]
.LBB3_129:
	s_or_b64 exec, exec, s[2:3]
                                        ; implicit-def: $vgpr0_vgpr1
                                        ; implicit-def: $vgpr6_vgpr7_vgpr8_vgpr9
                                        ; implicit-def: $vgpr10_vgpr11_vgpr12_vgpr13
                                        ; implicit-def: $vgpr14_vgpr15_vgpr16_vgpr17
                                        ; implicit-def: $vgpr26_vgpr27_vgpr28_vgpr29
.LBB3_130:
	s_andn2_saveexec_b64 s[0:1], s[0:1]
	s_cbranch_execz .LBB3_157
; %bb.131:
	v_cmp_lt_i64_e32 vcc, 3, v[0:1]
	s_and_saveexec_b64 s[0:1], vcc
	s_xor_b64 s[0:1], exec, s[0:1]
	s_cbranch_execz .LBB3_145
; %bb.132:
	v_cmp_lt_i64_e32 vcc, 5, v[0:1]
	s_and_saveexec_b64 s[2:3], vcc
	s_xor_b64 s[2:3], exec, s[2:3]
	;; [unrolled: 5-line block ×3, first 2 shown]
	s_cbranch_execz .LBB3_135
; %bb.134:
	v_mov_b32_e32 v0, 0
	global_store_dwordx2 v0, v[28:29], s[6:7]
                                        ; implicit-def: $vgpr26_vgpr27_vgpr28_vgpr29
.LBB3_135:
	s_andn2_saveexec_b64 s[4:5], s[4:5]
	s_cbranch_execz .LBB3_137
; %bb.136:
	v_mov_b32_e32 v0, 0
	global_store_dwordx2 v0, v[26:27], s[6:7]
.LBB3_137:
	s_or_b64 exec, exec, s[4:5]
                                        ; implicit-def: $vgpr10_vgpr11_vgpr12_vgpr13
                                        ; implicit-def: $vgpr0_vgpr1
.LBB3_138:
	s_andn2_saveexec_b64 s[2:3], s[2:3]
	s_cbranch_execz .LBB3_144
; %bb.139:
	v_cmp_lt_i64_e32 vcc, 4, v[0:1]
	s_and_saveexec_b64 s[4:5], vcc
	s_xor_b64 s[4:5], exec, s[4:5]
	s_cbranch_execz .LBB3_141
; %bb.140:
	v_mov_b32_e32 v0, 0
	global_store_dwordx2 v0, v[12:13], s[6:7]
                                        ; implicit-def: $vgpr10_vgpr11_vgpr12_vgpr13
.LBB3_141:
	s_andn2_saveexec_b64 s[4:5], s[4:5]
	s_cbranch_execz .LBB3_143
; %bb.142:
	v_mov_b32_e32 v0, 0
	global_store_dwordx2 v0, v[10:11], s[6:7]
.LBB3_143:
	s_or_b64 exec, exec, s[4:5]
.LBB3_144:
	s_or_b64 exec, exec, s[2:3]
                                        ; implicit-def: $vgpr0_vgpr1
                                        ; implicit-def: $vgpr6_vgpr7_vgpr8_vgpr9
                                        ; implicit-def: $vgpr14_vgpr15_vgpr16_vgpr17
.LBB3_145:
	s_andn2_saveexec_b64 s[0:1], s[0:1]
	s_cbranch_execz .LBB3_157
; %bb.146:
	v_cmp_lt_i64_e32 vcc, 1, v[0:1]
	s_and_saveexec_b64 s[0:1], vcc
	s_xor_b64 s[0:1], exec, s[0:1]
	s_cbranch_execz .LBB3_152
; %bb.147:
	v_cmp_lt_i64_e32 vcc, 2, v[0:1]
	s_and_saveexec_b64 s[2:3], vcc
	s_xor_b64 s[2:3], exec, s[2:3]
	s_cbranch_execz .LBB3_149
; %bb.148:
	v_mov_b32_e32 v0, 0
	global_store_dwordx2 v0, v[16:17], s[6:7]
                                        ; implicit-def: $vgpr14_vgpr15_vgpr16_vgpr17
.LBB3_149:
	s_andn2_saveexec_b64 s[2:3], s[2:3]
	s_cbranch_execz .LBB3_151
; %bb.150:
	v_mov_b32_e32 v0, 0
	global_store_dwordx2 v0, v[14:15], s[6:7]
.LBB3_151:
	s_or_b64 exec, exec, s[2:3]
                                        ; implicit-def: $vgpr6_vgpr7_vgpr8_vgpr9
                                        ; implicit-def: $vgpr0_vgpr1
.LBB3_152:
	s_andn2_saveexec_b64 s[0:1], s[0:1]
	s_cbranch_execz .LBB3_157
; %bb.153:
	v_cmp_ne_u64_e32 vcc, 1, v[0:1]
	s_and_saveexec_b64 s[0:1], vcc
	s_xor_b64 s[0:1], exec, s[0:1]
	s_cbranch_execz .LBB3_155
; %bb.154:
	v_mov_b32_e32 v0, 0
	global_store_dwordx2 v0, v[6:7], s[6:7]
                                        ; implicit-def: $vgpr6_vgpr7_vgpr8_vgpr9
.LBB3_155:
	s_andn2_saveexec_b64 s[0:1], s[0:1]
	s_cbranch_execz .LBB3_157
; %bb.156:
	v_mov_b32_e32 v0, 0
	global_store_dwordx2 v0, v[8:9], s[6:7]
.LBB3_157:
	s_endpgm
	.section	.rodata,"a",@progbits
	.p2align	6, 0x0
	.amdhsa_kernel _ZN7rocprim6detail20lookback_scan_kernelILNS0_25lookback_scan_determinismE0ELb1ENS0_19wrapped_scan_configINS_14default_configEdEEPdS6_N4RAJA9operators4plusIdddEEddNS0_19lookback_scan_stateIdLb0ELb1EEEEEvT2_T3_mT5_T4_T7_jPT6_SJ_bb
		.amdhsa_group_segment_fixed_size 30720
		.amdhsa_private_segment_fixed_size 0
		.amdhsa_kernarg_size 76
		.amdhsa_user_sgpr_count 2
		.amdhsa_user_sgpr_dispatch_ptr 0
		.amdhsa_user_sgpr_queue_ptr 0
		.amdhsa_user_sgpr_kernarg_segment_ptr 1
		.amdhsa_user_sgpr_dispatch_id 0
		.amdhsa_user_sgpr_kernarg_preload_length 0
		.amdhsa_user_sgpr_kernarg_preload_offset 0
		.amdhsa_user_sgpr_private_segment_size 0
		.amdhsa_uses_dynamic_stack 0
		.amdhsa_enable_private_segment 0
		.amdhsa_system_sgpr_workgroup_id_x 1
		.amdhsa_system_sgpr_workgroup_id_y 0
		.amdhsa_system_sgpr_workgroup_id_z 0
		.amdhsa_system_sgpr_workgroup_info 0
		.amdhsa_system_vgpr_workitem_id 0
		.amdhsa_next_free_vgpr 69
		.amdhsa_next_free_sgpr 68
		.amdhsa_accum_offset 72
		.amdhsa_reserve_vcc 1
		.amdhsa_float_round_mode_32 0
		.amdhsa_float_round_mode_16_64 0
		.amdhsa_float_denorm_mode_32 3
		.amdhsa_float_denorm_mode_16_64 3
		.amdhsa_dx10_clamp 1
		.amdhsa_ieee_mode 1
		.amdhsa_fp16_overflow 0
		.amdhsa_tg_split 0
		.amdhsa_exception_fp_ieee_invalid_op 0
		.amdhsa_exception_fp_denorm_src 0
		.amdhsa_exception_fp_ieee_div_zero 0
		.amdhsa_exception_fp_ieee_overflow 0
		.amdhsa_exception_fp_ieee_underflow 0
		.amdhsa_exception_fp_ieee_inexact 0
		.amdhsa_exception_int_div_zero 0
	.end_amdhsa_kernel
	.section	.text._ZN7rocprim6detail20lookback_scan_kernelILNS0_25lookback_scan_determinismE0ELb1ENS0_19wrapped_scan_configINS_14default_configEdEEPdS6_N4RAJA9operators4plusIdddEEddNS0_19lookback_scan_stateIdLb0ELb1EEEEEvT2_T3_mT5_T4_T7_jPT6_SJ_bb,"axG",@progbits,_ZN7rocprim6detail20lookback_scan_kernelILNS0_25lookback_scan_determinismE0ELb1ENS0_19wrapped_scan_configINS_14default_configEdEEPdS6_N4RAJA9operators4plusIdddEEddNS0_19lookback_scan_stateIdLb0ELb1EEEEEvT2_T3_mT5_T4_T7_jPT6_SJ_bb,comdat
.Lfunc_end3:
	.size	_ZN7rocprim6detail20lookback_scan_kernelILNS0_25lookback_scan_determinismE0ELb1ENS0_19wrapped_scan_configINS_14default_configEdEEPdS6_N4RAJA9operators4plusIdddEEddNS0_19lookback_scan_stateIdLb0ELb1EEEEEvT2_T3_mT5_T4_T7_jPT6_SJ_bb, .Lfunc_end3-_ZN7rocprim6detail20lookback_scan_kernelILNS0_25lookback_scan_determinismE0ELb1ENS0_19wrapped_scan_configINS_14default_configEdEEPdS6_N4RAJA9operators4plusIdddEEddNS0_19lookback_scan_stateIdLb0ELb1EEEEEvT2_T3_mT5_T4_T7_jPT6_SJ_bb
                                        ; -- End function
	.section	.AMDGPU.csdata,"",@progbits
; Kernel info:
; codeLenInByte = 6936
; NumSgprs: 74
; NumVgprs: 69
; NumAgprs: 0
; TotalNumVgprs: 69
; ScratchSize: 0
; MemoryBound: 1
; FloatMode: 240
; IeeeMode: 1
; LDSByteSize: 30720 bytes/workgroup (compile time only)
; SGPRBlocks: 9
; VGPRBlocks: 8
; NumSGPRsForWavesPerEU: 74
; NumVGPRsForWavesPerEU: 69
; AccumOffset: 72
; Occupancy: 2
; WaveLimiterHint : 1
; COMPUTE_PGM_RSRC2:SCRATCH_EN: 0
; COMPUTE_PGM_RSRC2:USER_SGPR: 2
; COMPUTE_PGM_RSRC2:TRAP_HANDLER: 0
; COMPUTE_PGM_RSRC2:TGID_X_EN: 1
; COMPUTE_PGM_RSRC2:TGID_Y_EN: 0
; COMPUTE_PGM_RSRC2:TGID_Z_EN: 0
; COMPUTE_PGM_RSRC2:TIDIG_COMP_CNT: 0
; COMPUTE_PGM_RSRC3_GFX90A:ACCUM_OFFSET: 17
; COMPUTE_PGM_RSRC3_GFX90A:TG_SPLIT: 0
	.section	.text._ZN7rocprim6detail16transform_kernelINS0_24wrapped_transform_configINS_14default_configEdEEdPdS5_NS_8identityIdEEEEvT1_mT2_T3_,"axG",@progbits,_ZN7rocprim6detail16transform_kernelINS0_24wrapped_transform_configINS_14default_configEdEEdPdS5_NS_8identityIdEEEEvT1_mT2_T3_,comdat
	.protected	_ZN7rocprim6detail16transform_kernelINS0_24wrapped_transform_configINS_14default_configEdEEdPdS5_NS_8identityIdEEEEvT1_mT2_T3_ ; -- Begin function _ZN7rocprim6detail16transform_kernelINS0_24wrapped_transform_configINS_14default_configEdEEdPdS5_NS_8identityIdEEEEvT1_mT2_T3_
	.globl	_ZN7rocprim6detail16transform_kernelINS0_24wrapped_transform_configINS_14default_configEdEEdPdS5_NS_8identityIdEEEEvT1_mT2_T3_
	.p2align	8
	.type	_ZN7rocprim6detail16transform_kernelINS0_24wrapped_transform_configINS_14default_configEdEEdPdS5_NS_8identityIdEEEEvT1_mT2_T3_,@function
_ZN7rocprim6detail16transform_kernelINS0_24wrapped_transform_configINS_14default_configEdEEdPdS5_NS_8identityIdEEEEvT1_mT2_T3_: ; @_ZN7rocprim6detail16transform_kernelINS0_24wrapped_transform_configINS_14default_configEdEEdPdS5_NS_8identityIdEEEEvT1_mT2_T3_
; %bb.0:
	s_load_dword s3, s[0:1], 0x20
	s_load_dwordx4 s[4:7], s[0:1], 0x0
	s_load_dwordx2 s[8:9], s[0:1], 0x10
	s_lshl_b32 s0, s2, 12
	s_mov_b32 s1, 0
	s_waitcnt lgkmcnt(0)
	s_add_i32 s3, s3, -1
	s_lshl_b64 s[10:11], s[0:1], 3
	s_add_u32 s4, s4, s10
	s_addc_u32 s5, s5, s11
	v_mov_b32_e32 v11, 0
	v_lshlrev_b32_e32 v10, 3, v0
	s_cmp_lg_u32 s2, s3
	v_lshl_add_u64 v[12:13], s[4:5], 0, v[10:11]
	s_cbranch_scc0 .LBB4_2
; %bb.1:
	v_add_co_u32_e32 v2, vcc, 0x2000, v12
	s_add_u32 s4, s8, s10
	s_nop 0
	v_addc_co_u32_e32 v3, vcc, 0, v13, vcc
	v_add_co_u32_e32 v4, vcc, 0x4000, v12
	s_addc_u32 s5, s9, s11
	s_nop 0
	v_addc_co_u32_e32 v5, vcc, 0, v13, vcc
	global_load_dwordx2 v[6:7], v[12:13], off
	global_load_dwordx2 v[14:15], v[2:3], off
	;; [unrolled: 1-line block ×3, first 2 shown]
	v_add_co_u32_e32 v2, vcc, 0x6000, v12
	s_nop 1
	v_addc_co_u32_e32 v3, vcc, 0, v13, vcc
	global_load_dwordx2 v[8:9], v[2:3], off
	v_lshl_add_u64 v[2:3], s[4:5], 0, v[10:11]
	v_add_co_u32_e32 v4, vcc, 0x2000, v2
	s_mov_b64 s[12:13], -1
	s_nop 0
	v_addc_co_u32_e32 v5, vcc, 0, v3, vcc
	v_add_co_u32_e32 v2, vcc, 0x4000, v2
	s_nop 1
	v_addc_co_u32_e32 v3, vcc, 0, v3, vcc
	s_waitcnt vmcnt(3)
	global_store_dwordx2 v10, v[6:7], s[4:5]
	s_waitcnt vmcnt(3)
	global_store_dwordx2 v[4:5], v[14:15], off
	s_waitcnt vmcnt(3)
	global_store_dwordx2 v[2:3], v[16:17], off
	s_cbranch_execz .LBB4_3
	s_branch .LBB4_16
.LBB4_2:
	s_mov_b64 s[12:13], 0
                                        ; implicit-def: $vgpr8_vgpr9
.LBB4_3:
	s_sub_i32 s12, s6, s0
	v_cmp_gt_u32_e64 s[0:1], s12, v0
                                        ; implicit-def: $vgpr2_vgpr3_vgpr4_vgpr5_vgpr6_vgpr7_vgpr8_vgpr9
	s_and_saveexec_b64 s[2:3], s[0:1]
	s_cbranch_execz .LBB4_5
; %bb.4:
	global_load_dwordx2 v[2:3], v[12:13], off
.LBB4_5:
	s_or_b64 exec, exec, s[2:3]
	v_or_b32_e32 v1, 0x400, v0
	v_cmp_gt_u32_e64 s[2:3], s12, v1
	s_and_saveexec_b64 s[4:5], s[2:3]
	s_cbranch_execz .LBB4_7
; %bb.6:
	v_add_co_u32_e32 v4, vcc, 0x2000, v12
	s_nop 1
	v_addc_co_u32_e32 v5, vcc, 0, v13, vcc
	global_load_dwordx2 v[4:5], v[4:5], off
.LBB4_7:
	s_or_b64 exec, exec, s[4:5]
	v_or_b32_e32 v1, 0x800, v0
	v_cmp_gt_u32_e64 s[4:5], s12, v1
	s_and_saveexec_b64 s[6:7], s[4:5]
	s_cbranch_execz .LBB4_9
; %bb.8:
	v_add_co_u32_e32 v6, vcc, 0x4000, v12
	s_nop 1
	v_addc_co_u32_e32 v7, vcc, 0, v13, vcc
	global_load_dwordx2 v[6:7], v[6:7], off
.LBB4_9:
	s_or_b64 exec, exec, s[6:7]
	v_or_b32_e32 v0, 0xc00, v0
	v_cmp_gt_u32_e64 s[12:13], s12, v0
	s_and_saveexec_b64 s[6:7], s[12:13]
	s_cbranch_execz .LBB4_11
; %bb.10:
	v_add_co_u32_e32 v0, vcc, 0x6000, v12
	s_nop 1
	v_addc_co_u32_e32 v1, vcc, 0, v13, vcc
	global_load_dwordx2 v[8:9], v[0:1], off
.LBB4_11:
	s_or_b64 exec, exec, s[6:7]
	s_add_u32 s6, s8, s10
	s_addc_u32 s7, s9, s11
	v_mov_b32_e32 v11, 0
	v_lshl_add_u64 v[0:1], s[6:7], 0, v[10:11]
	s_and_saveexec_b64 s[6:7], s[0:1]
	s_cbranch_execnz .LBB4_19
; %bb.12:
	s_or_b64 exec, exec, s[6:7]
	s_and_saveexec_b64 s[0:1], s[2:3]
	s_cbranch_execnz .LBB4_20
.LBB4_13:
	s_or_b64 exec, exec, s[0:1]
	s_and_saveexec_b64 s[0:1], s[4:5]
	s_cbranch_execz .LBB4_15
.LBB4_14:
	v_add_co_u32_e32 v0, vcc, 0x4000, v0
	s_nop 1
	v_addc_co_u32_e32 v1, vcc, 0, v1, vcc
	s_waitcnt vmcnt(0)
	global_store_dwordx2 v[0:1], v[6:7], off
.LBB4_15:
	s_or_b64 exec, exec, s[0:1]
.LBB4_16:
	s_and_saveexec_b64 s[0:1], s[12:13]
	s_cbranch_execnz .LBB4_18
; %bb.17:
	s_endpgm
.LBB4_18:
	s_add_u32 s0, s8, s10
	s_addc_u32 s1, s9, s11
	v_mov_b32_e32 v11, 0
	v_lshl_add_u64 v[0:1], s[0:1], 0, v[10:11]
	v_add_co_u32_e32 v0, vcc, 0x6000, v0
	s_nop 1
	v_addc_co_u32_e32 v1, vcc, 0, v1, vcc
	s_waitcnt vmcnt(0)
	global_store_dwordx2 v[0:1], v[8:9], off
	s_endpgm
.LBB4_19:
	s_waitcnt vmcnt(0)
	global_store_dwordx2 v[0:1], v[2:3], off
	s_or_b64 exec, exec, s[6:7]
	s_and_saveexec_b64 s[0:1], s[2:3]
	s_cbranch_execz .LBB4_13
.LBB4_20:
	s_waitcnt vmcnt(0)
	v_add_co_u32_e32 v2, vcc, 0x2000, v0
	s_nop 1
	v_addc_co_u32_e32 v3, vcc, 0, v1, vcc
	global_store_dwordx2 v[2:3], v[4:5], off
	s_or_b64 exec, exec, s[0:1]
	s_and_saveexec_b64 s[0:1], s[4:5]
	s_cbranch_execnz .LBB4_14
	s_branch .LBB4_15
	.section	.rodata,"a",@progbits
	.p2align	6, 0x0
	.amdhsa_kernel _ZN7rocprim6detail16transform_kernelINS0_24wrapped_transform_configINS_14default_configEdEEdPdS5_NS_8identityIdEEEEvT1_mT2_T3_
		.amdhsa_group_segment_fixed_size 0
		.amdhsa_private_segment_fixed_size 0
		.amdhsa_kernarg_size 288
		.amdhsa_user_sgpr_count 2
		.amdhsa_user_sgpr_dispatch_ptr 0
		.amdhsa_user_sgpr_queue_ptr 0
		.amdhsa_user_sgpr_kernarg_segment_ptr 1
		.amdhsa_user_sgpr_dispatch_id 0
		.amdhsa_user_sgpr_kernarg_preload_length 0
		.amdhsa_user_sgpr_kernarg_preload_offset 0
		.amdhsa_user_sgpr_private_segment_size 0
		.amdhsa_uses_dynamic_stack 0
		.amdhsa_enable_private_segment 0
		.amdhsa_system_sgpr_workgroup_id_x 1
		.amdhsa_system_sgpr_workgroup_id_y 0
		.amdhsa_system_sgpr_workgroup_id_z 0
		.amdhsa_system_sgpr_workgroup_info 0
		.amdhsa_system_vgpr_workitem_id 0
		.amdhsa_next_free_vgpr 18
		.amdhsa_next_free_sgpr 14
		.amdhsa_accum_offset 20
		.amdhsa_reserve_vcc 1
		.amdhsa_float_round_mode_32 0
		.amdhsa_float_round_mode_16_64 0
		.amdhsa_float_denorm_mode_32 3
		.amdhsa_float_denorm_mode_16_64 3
		.amdhsa_dx10_clamp 1
		.amdhsa_ieee_mode 1
		.amdhsa_fp16_overflow 0
		.amdhsa_tg_split 0
		.amdhsa_exception_fp_ieee_invalid_op 0
		.amdhsa_exception_fp_denorm_src 0
		.amdhsa_exception_fp_ieee_div_zero 0
		.amdhsa_exception_fp_ieee_overflow 0
		.amdhsa_exception_fp_ieee_underflow 0
		.amdhsa_exception_fp_ieee_inexact 0
		.amdhsa_exception_int_div_zero 0
	.end_amdhsa_kernel
	.section	.text._ZN7rocprim6detail16transform_kernelINS0_24wrapped_transform_configINS_14default_configEdEEdPdS5_NS_8identityIdEEEEvT1_mT2_T3_,"axG",@progbits,_ZN7rocprim6detail16transform_kernelINS0_24wrapped_transform_configINS_14default_configEdEEdPdS5_NS_8identityIdEEEEvT1_mT2_T3_,comdat
.Lfunc_end4:
	.size	_ZN7rocprim6detail16transform_kernelINS0_24wrapped_transform_configINS_14default_configEdEEdPdS5_NS_8identityIdEEEEvT1_mT2_T3_, .Lfunc_end4-_ZN7rocprim6detail16transform_kernelINS0_24wrapped_transform_configINS_14default_configEdEEdPdS5_NS_8identityIdEEEEvT1_mT2_T3_
                                        ; -- End function
	.section	.AMDGPU.csdata,"",@progbits
; Kernel info:
; codeLenInByte = 660
; NumSgprs: 20
; NumVgprs: 18
; NumAgprs: 0
; TotalNumVgprs: 18
; ScratchSize: 0
; MemoryBound: 1
; FloatMode: 240
; IeeeMode: 1
; LDSByteSize: 0 bytes/workgroup (compile time only)
; SGPRBlocks: 2
; VGPRBlocks: 2
; NumSGPRsForWavesPerEU: 20
; NumVGPRsForWavesPerEU: 18
; AccumOffset: 20
; Occupancy: 8
; WaveLimiterHint : 1
; COMPUTE_PGM_RSRC2:SCRATCH_EN: 0
; COMPUTE_PGM_RSRC2:USER_SGPR: 2
; COMPUTE_PGM_RSRC2:TRAP_HANDLER: 0
; COMPUTE_PGM_RSRC2:TGID_X_EN: 1
; COMPUTE_PGM_RSRC2:TGID_Y_EN: 0
; COMPUTE_PGM_RSRC2:TGID_Z_EN: 0
; COMPUTE_PGM_RSRC2:TIDIG_COMP_CNT: 0
; COMPUTE_PGM_RSRC3_GFX90A:ACCUM_OFFSET: 4
; COMPUTE_PGM_RSRC3_GFX90A:TG_SPLIT: 0
	.section	.text._ZN7rocprim6detail18single_scan_kernelILb1ENS0_19wrapped_scan_configINS_14default_configEdEEPdS5_N4RAJA9operators4plusIdddEEddEEvT1_mT4_T2_T3_,"axG",@progbits,_ZN7rocprim6detail18single_scan_kernelILb1ENS0_19wrapped_scan_configINS_14default_configEdEEPdS5_N4RAJA9operators4plusIdddEEddEEvT1_mT4_T2_T3_,comdat
	.protected	_ZN7rocprim6detail18single_scan_kernelILb1ENS0_19wrapped_scan_configINS_14default_configEdEEPdS5_N4RAJA9operators4plusIdddEEddEEvT1_mT4_T2_T3_ ; -- Begin function _ZN7rocprim6detail18single_scan_kernelILb1ENS0_19wrapped_scan_configINS_14default_configEdEEPdS5_N4RAJA9operators4plusIdddEEddEEvT1_mT4_T2_T3_
	.globl	_ZN7rocprim6detail18single_scan_kernelILb1ENS0_19wrapped_scan_configINS_14default_configEdEEPdS5_N4RAJA9operators4plusIdddEEddEEvT1_mT4_T2_T3_
	.p2align	8
	.type	_ZN7rocprim6detail18single_scan_kernelILb1ENS0_19wrapped_scan_configINS_14default_configEdEEPdS5_N4RAJA9operators4plusIdddEEddEEvT1_mT4_T2_T3_,@function
_ZN7rocprim6detail18single_scan_kernelILb1ENS0_19wrapped_scan_configINS_14default_configEdEEPdS5_N4RAJA9operators4plusIdddEEddEEvT1_mT4_T2_T3_: ; @_ZN7rocprim6detail18single_scan_kernelILb1ENS0_19wrapped_scan_configINS_14default_configEdEEPdS5_N4RAJA9operators4plusIdddEEddEEvT1_mT4_T2_T3_
; %bb.0:
	s_load_dwordx8 s[68:75], s[0:1], 0x0
	v_mov_b32_e32 v35, 0
	v_lshlrev_b32_e32 v34, 3, v0
	s_waitcnt lgkmcnt(0)
	s_load_dwordx2 s[36:37], s[68:69], 0x0
	v_lshl_add_u64 v[36:37], s[68:69], 0, v[34:35]
	v_cmp_gt_u32_e64 s[0:1], s70, v0
	s_waitcnt lgkmcnt(0)
	s_mov_b32 s38, s36
	s_mov_b32 s39, s37
	s_mov_b32 s40, s36
	s_mov_b32 s41, s37
	s_mov_b32 s42, s36
	s_mov_b32 s43, s37
	s_mov_b32 s44, s36
	s_mov_b32 s45, s37
	s_mov_b32 s46, s36
	s_mov_b32 s47, s37
	s_mov_b32 s48, s36
	s_mov_b32 s49, s37
	s_mov_b32 s50, s36
	s_mov_b32 s51, s37
	s_mov_b32 s52, s36
	s_mov_b32 s53, s37
	s_mov_b32 s54, s36
	s_mov_b32 s55, s37
	s_mov_b32 s56, s36
	s_mov_b32 s57, s37
	s_mov_b32 s58, s36
	s_mov_b32 s59, s37
	s_mov_b32 s60, s36
	s_mov_b32 s61, s37
	s_mov_b32 s62, s36
	s_mov_b32 s63, s37
	s_mov_b32 s64, s36
	s_mov_b32 s65, s37
	v_mov_b64_e32 v[2:3], s[36:37]
	v_mov_b64_e32 v[4:5], s[38:39]
	;; [unrolled: 1-line block ×16, first 2 shown]
	s_and_saveexec_b64 s[2:3], s[0:1]
	s_cbranch_execz .LBB5_2
; %bb.1:
	global_load_dwordx2 v[2:3], v[36:37], off
	v_mov_b32_e32 v4, s36
	v_mov_b32_e32 v5, s37
	;; [unrolled: 1-line block ×28, first 2 shown]
.LBB5_2:
	s_or_b64 exec, exec, s[2:3]
	v_or_b32_e32 v1, 0x100, v0
	v_cmp_gt_u32_e64 s[2:3], s70, v1
	s_and_saveexec_b64 s[4:5], s[2:3]
	s_cbranch_execz .LBB5_4
; %bb.3:
	global_load_dwordx2 v[4:5], v[36:37], off offset:2048
.LBB5_4:
	s_or_b64 exec, exec, s[4:5]
	v_or_b32_e32 v1, 0x200, v0
	v_cmp_gt_u32_e64 s[4:5], s70, v1
	s_and_saveexec_b64 s[6:7], s[4:5]
	s_cbranch_execz .LBB5_6
; %bb.5:
	v_add_co_u32_e32 v6, vcc, 0x1000, v36
	s_nop 1
	v_addc_co_u32_e32 v7, vcc, 0, v37, vcc
	global_load_dwordx2 v[6:7], v[6:7], off
.LBB5_6:
	s_or_b64 exec, exec, s[6:7]
	v_or_b32_e32 v1, 0x300, v0
	v_cmp_gt_u32_e64 s[6:7], s70, v1
	s_and_saveexec_b64 s[8:9], s[6:7]
	s_cbranch_execz .LBB5_8
; %bb.7:
	v_add_co_u32_e32 v8, vcc, 0x1000, v36
	s_nop 1
	v_addc_co_u32_e32 v9, vcc, 0, v37, vcc
	global_load_dwordx2 v[8:9], v[8:9], off offset:2048
.LBB5_8:
	s_or_b64 exec, exec, s[8:9]
	v_or_b32_e32 v1, 0x400, v0
	v_cmp_gt_u32_e64 s[8:9], s70, v1
	s_and_saveexec_b64 s[10:11], s[8:9]
	s_cbranch_execz .LBB5_10
; %bb.9:
	v_add_co_u32_e32 v10, vcc, 0x2000, v36
	s_nop 1
	v_addc_co_u32_e32 v11, vcc, 0, v37, vcc
	global_load_dwordx2 v[10:11], v[10:11], off
.LBB5_10:
	s_or_b64 exec, exec, s[10:11]
	v_or_b32_e32 v1, 0x500, v0
	v_cmp_gt_u32_e64 s[10:11], s70, v1
	s_and_saveexec_b64 s[12:13], s[10:11]
	s_cbranch_execz .LBB5_12
; %bb.11:
	v_add_co_u32_e32 v12, vcc, 0x2000, v36
	s_nop 1
	v_addc_co_u32_e32 v13, vcc, 0, v37, vcc
	global_load_dwordx2 v[12:13], v[12:13], off offset:2048
.LBB5_12:
	;; [unrolled: 22-line block ×6, first 2 shown]
	s_or_b64 exec, exec, s[28:29]
	v_or_b32_e32 v1, 0xe00, v0
	v_cmp_gt_u32_e64 s[28:29], s70, v1
	s_and_saveexec_b64 s[30:31], s[28:29]
	s_cbranch_execz .LBB5_30
; %bb.29:
	v_add_co_u32_e32 v30, vcc, 0x7000, v36
	s_nop 1
	v_addc_co_u32_e32 v31, vcc, 0, v37, vcc
	global_load_dwordx2 v[30:31], v[30:31], off
.LBB5_30:
	s_or_b64 exec, exec, s[30:31]
	s_movk_i32 s30, 0x70
	v_mad_u32_u24 v1, v0, s30, v34
	s_waitcnt vmcnt(0)
	ds_write2st64_b64 v34, v[2:3], v[4:5] offset1:4
	ds_write2st64_b64 v34, v[6:7], v[8:9] offset0:8 offset1:12
	ds_write2st64_b64 v34, v[10:11], v[12:13] offset0:16 offset1:20
	;; [unrolled: 1-line block ×6, first 2 shown]
	ds_write_b64 v34, v[30:31] offset:28672
	s_waitcnt lgkmcnt(0)
	s_barrier
	ds_read2_b64 v[2:5], v1 offset1:1
	ds_read2_b64 v[6:9], v1 offset0:2 offset1:3
	ds_read2_b64 v[10:13], v1 offset0:4 offset1:5
	;; [unrolled: 1-line block ×6, first 2 shown]
	ds_read_b64 v[30:31], v1 offset:112
	s_waitcnt lgkmcnt(7)
	v_add_f64 v[32:33], v[2:3], v[4:5]
	s_waitcnt lgkmcnt(6)
	v_add_f64 v[32:33], v[32:33], v[6:7]
	v_add_f64 v[32:33], v[32:33], v[8:9]
	s_waitcnt lgkmcnt(5)
	v_add_f64 v[32:33], v[32:33], v[10:11]
	;; [unrolled: 3-line block ×7, first 2 shown]
	v_lshrrev_b32_e32 v32, 2, v0
	v_and_b32_e32 v32, 56, v32
	v_add_u32_e32 v32, v34, v32
	v_cmp_gt_u32_e32 vcc, 64, v0
	s_barrier
	ds_write_b64 v32, v[30:31]
	s_waitcnt lgkmcnt(0)
	s_barrier
	s_and_saveexec_b64 s[30:31], vcc
	s_cbranch_execz .LBB5_32
; %bb.31:
	v_lshlrev_b32_e32 v32, 2, v0
	v_lshrrev_b32_e32 v33, 3, v0
	v_add_lshl_u32 v35, v33, v32, 3
	ds_read2_b64 v[36:39], v35 offset1:1
	ds_read2_b64 v[40:43], v35 offset0:2 offset1:3
	v_mbcnt_lo_u32_b32 v32, -1, 0
	v_mbcnt_hi_u32_b32 v46, -1, v32
	v_and_b32_e32 v47, 15, v46
	s_waitcnt lgkmcnt(1)
	v_add_f64 v[32:33], v[36:37], v[38:39]
	s_waitcnt lgkmcnt(0)
	v_add_f64 v[32:33], v[32:33], v[40:41]
	v_add_f64 v[32:33], v[32:33], v[42:43]
	v_cmp_eq_u32_e32 vcc, 0, v47
	s_nop 0
	v_mov_b32_dpp v44, v32 row_shr:1 row_mask:0xf bank_mask:0xf
	v_mov_b32_dpp v45, v33 row_shr:1 row_mask:0xf bank_mask:0xf
	v_add_f64 v[44:45], v[32:33], v[44:45]
	v_cndmask_b32_e32 v33, v45, v33, vcc
	v_cndmask_b32_e32 v32, v44, v32, vcc
	v_cmp_lt_u32_e32 vcc, 1, v47
	v_mov_b32_dpp v45, v33 row_shr:2 row_mask:0xf bank_mask:0xf
	v_mov_b32_dpp v44, v32 row_shr:2 row_mask:0xf bank_mask:0xf
	v_add_f64 v[44:45], v[32:33], v[44:45]
	v_cndmask_b32_e32 v32, v32, v44, vcc
	v_cndmask_b32_e32 v33, v33, v45, vcc
	v_cmp_lt_u32_e32 vcc, 3, v47
	;; [unrolled: 6-line block ×3, first 2 shown]
	v_mov_b32_dpp v44, v32 row_shr:8 row_mask:0xf bank_mask:0xf
	v_mov_b32_dpp v45, v33 row_shr:8 row_mask:0xf bank_mask:0xf
	v_add_f64 v[44:45], v[32:33], v[44:45]
	v_cndmask_b32_e32 v32, v32, v44, vcc
	v_cndmask_b32_e32 v33, v33, v45, vcc
	v_and_b32_e32 v47, 16, v46
	v_mov_b32_dpp v44, v32 row_bcast:15 row_mask:0xf bank_mask:0xf
	v_mov_b32_dpp v45, v33 row_bcast:15 row_mask:0xf bank_mask:0xf
	v_add_f64 v[44:45], v[32:33], v[44:45]
	v_cmp_eq_u32_e32 vcc, 0, v47
	s_nop 1
	v_cndmask_b32_e32 v33, v45, v33, vcc
	v_cndmask_b32_e32 v32, v44, v32, vcc
	v_cmp_lt_u32_e32 vcc, 31, v46
	v_mov_b32_dpp v45, v33 row_bcast:31 row_mask:0xf bank_mask:0xf
	v_mov_b32_dpp v44, v32 row_bcast:31 row_mask:0xf bank_mask:0xf
	v_add_f64 v[44:45], v[32:33], v[44:45]
	v_cndmask_b32_e32 v33, v33, v45, vcc
	v_cndmask_b32_e32 v32, v32, v44, vcc
	v_add_u32_e32 v44, -1, v46
	v_and_b32_e32 v45, 64, v46
	v_cmp_lt_i32_e32 vcc, v44, v45
	s_nop 1
	v_cndmask_b32_e32 v44, v44, v46, vcc
	v_lshlrev_b32_e32 v44, 2, v44
	ds_bpermute_b32 v32, v44, v32
	ds_bpermute_b32 v33, v44, v33
	v_cmp_eq_u32_e32 vcc, 0, v0
	s_waitcnt lgkmcnt(0)
	v_add_f64 v[32:33], v[36:37], v[32:33]
	v_cndmask_b32_e32 v31, v33, v31, vcc
	v_cndmask_b32_e32 v30, v32, v30, vcc
	v_add_f64 v[32:33], v[38:39], v[30:31]
	ds_write2_b64 v35, v[30:31], v[32:33] offset1:1
	v_add_f64 v[30:31], v[40:41], v[32:33]
	v_add_f64 v[32:33], v[42:43], v[30:31]
	ds_write2_b64 v35, v[30:31], v[32:33] offset0:2 offset1:3
.LBB5_32:
	s_or_b64 exec, exec, s[30:31]
	v_cmp_ne_u32_e32 vcc, 0, v0
	v_mov_b64_e32 v[30:31], s[72:73]
	s_waitcnt lgkmcnt(0)
	s_barrier
	s_and_saveexec_b64 s[30:31], vcc
	s_cbranch_execz .LBB5_34
; %bb.33:
	v_add_u32_e32 v30, -1, v0
	v_lshrrev_b32_e32 v31, 5, v30
	v_add_lshl_u32 v30, v31, v30, 3
	ds_read_b64 v[30:31], v30
	s_waitcnt lgkmcnt(0)
	v_add_f64 v[30:31], v[30:31], s[72:73]
.LBB5_34:
	s_or_b64 exec, exec, s[30:31]
	v_add_f64 v[2:3], v[2:3], v[30:31]
	v_add_f64 v[4:5], v[4:5], v[2:3]
	v_add_f64 v[6:7], v[6:7], v[4:5]
	v_add_f64 v[8:9], v[8:9], v[6:7]
	v_add_f64 v[10:11], v[10:11], v[8:9]
	v_add_f64 v[12:13], v[12:13], v[10:11]
	v_add_f64 v[14:15], v[14:15], v[12:13]
	v_add_f64 v[16:17], v[16:17], v[14:15]
	v_add_f64 v[18:19], v[18:19], v[16:17]
	v_add_f64 v[20:21], v[20:21], v[18:19]
	v_add_f64 v[22:23], v[22:23], v[20:21]
	v_add_f64 v[24:25], v[24:25], v[22:23]
	v_add_f64 v[26:27], v[26:27], v[24:25]
	s_movk_i32 s30, 0xff90
	v_add_f64 v[28:29], v[28:29], v[26:27]
	s_barrier
	ds_write2_b64 v1, v[30:31], v[2:3] offset1:1
	ds_write2_b64 v1, v[4:5], v[6:7] offset0:2 offset1:3
	ds_write2_b64 v1, v[8:9], v[10:11] offset0:4 offset1:5
	;; [unrolled: 1-line block ×6, first 2 shown]
	ds_write_b64 v1, v[28:29] offset:112
	v_mad_i32_i24 v24, v0, s30, v1
	s_waitcnt lgkmcnt(0)
	s_barrier
	ds_read2st64_b64 v[20:23], v24 offset0:4 offset1:8
	ds_read2st64_b64 v[16:19], v24 offset0:12 offset1:20
	;; [unrolled: 1-line block ×6, first 2 shown]
	ds_read_b64 v[28:29], v34 offset:24576
	ds_read_b64 v[24:25], v24 offset:28672
	v_mov_b32_e32 v35, 0
	v_lshl_add_u64 v[26:27], s[74:75], 0, v[34:35]
	s_and_saveexec_b64 s[30:31], s[0:1]
	s_cbranch_execnz .LBB5_50
; %bb.35:
	s_or_b64 exec, exec, s[30:31]
	s_and_saveexec_b64 s[0:1], s[2:3]
	s_cbranch_execnz .LBB5_51
.LBB5_36:
	s_or_b64 exec, exec, s[0:1]
	s_and_saveexec_b64 s[0:1], s[4:5]
	s_cbranch_execnz .LBB5_52
.LBB5_37:
	s_or_b64 exec, exec, s[0:1]
	s_and_saveexec_b64 s[0:1], s[6:7]
	s_cbranch_execnz .LBB5_53
.LBB5_38:
	s_or_b64 exec, exec, s[0:1]
	s_and_saveexec_b64 s[0:1], s[8:9]
	s_cbranch_execnz .LBB5_54
.LBB5_39:
	s_or_b64 exec, exec, s[0:1]
	s_and_saveexec_b64 s[0:1], s[10:11]
	s_cbranch_execnz .LBB5_55
.LBB5_40:
	s_or_b64 exec, exec, s[0:1]
	s_and_saveexec_b64 s[0:1], s[12:13]
	s_cbranch_execnz .LBB5_56
.LBB5_41:
	s_or_b64 exec, exec, s[0:1]
	s_and_saveexec_b64 s[0:1], s[14:15]
	s_cbranch_execnz .LBB5_57
.LBB5_42:
	s_or_b64 exec, exec, s[0:1]
	s_and_saveexec_b64 s[0:1], s[16:17]
	s_cbranch_execnz .LBB5_58
.LBB5_43:
	s_or_b64 exec, exec, s[0:1]
	s_and_saveexec_b64 s[0:1], s[18:19]
	s_cbranch_execnz .LBB5_59
.LBB5_44:
	s_or_b64 exec, exec, s[0:1]
	s_and_saveexec_b64 s[0:1], s[20:21]
	s_cbranch_execnz .LBB5_60
.LBB5_45:
	s_or_b64 exec, exec, s[0:1]
	s_and_saveexec_b64 s[0:1], s[22:23]
	s_cbranch_execnz .LBB5_61
.LBB5_46:
	s_or_b64 exec, exec, s[0:1]
	s_and_saveexec_b64 s[0:1], s[24:25]
	s_cbranch_execnz .LBB5_62
.LBB5_47:
	s_or_b64 exec, exec, s[0:1]
	s_and_saveexec_b64 s[0:1], s[26:27]
	s_cbranch_execnz .LBB5_63
.LBB5_48:
	s_or_b64 exec, exec, s[0:1]
	s_and_saveexec_b64 s[0:1], s[28:29]
	s_cbranch_execnz .LBB5_64
.LBB5_49:
	s_endpgm
.LBB5_50:
	ds_read_b64 v[30:31], v34
	s_waitcnt lgkmcnt(0)
	global_store_dwordx2 v[26:27], v[30:31], off
	s_or_b64 exec, exec, s[30:31]
	s_and_saveexec_b64 s[0:1], s[2:3]
	s_cbranch_execz .LBB5_36
.LBB5_51:
	s_waitcnt lgkmcnt(7)
	global_store_dwordx2 v[26:27], v[20:21], off offset:2048
	s_or_b64 exec, exec, s[0:1]
	s_and_saveexec_b64 s[0:1], s[4:5]
	s_cbranch_execz .LBB5_37
.LBB5_52:
	s_waitcnt lgkmcnt(7)
	v_add_co_u32_e32 v20, vcc, 0x1000, v26
	s_nop 1
	v_addc_co_u32_e32 v21, vcc, 0, v27, vcc
	global_store_dwordx2 v[20:21], v[22:23], off
	s_or_b64 exec, exec, s[0:1]
	s_and_saveexec_b64 s[0:1], s[6:7]
	s_cbranch_execz .LBB5_38
.LBB5_53:
	s_waitcnt lgkmcnt(7)
	v_add_co_u32_e32 v20, vcc, 0x1000, v26
	s_nop 1
	v_addc_co_u32_e32 v21, vcc, 0, v27, vcc
	s_waitcnt lgkmcnt(6)
	global_store_dwordx2 v[20:21], v[16:17], off offset:2048
	s_or_b64 exec, exec, s[0:1]
	s_and_saveexec_b64 s[0:1], s[8:9]
	s_cbranch_execz .LBB5_39
.LBB5_54:
	s_waitcnt lgkmcnt(6)
	v_add_co_u32_e32 v16, vcc, 0x2000, v26
	s_nop 1
	v_addc_co_u32_e32 v17, vcc, 0, v27, vcc
	s_waitcnt lgkmcnt(5)
	global_store_dwordx2 v[16:17], v[8:9], off
	s_or_b64 exec, exec, s[0:1]
	s_and_saveexec_b64 s[0:1], s[10:11]
	s_cbranch_execz .LBB5_40
.LBB5_55:
	s_waitcnt lgkmcnt(5)
	v_add_co_u32_e32 v8, vcc, 0x2000, v26
	s_nop 1
	v_addc_co_u32_e32 v9, vcc, 0, v27, vcc
	global_store_dwordx2 v[8:9], v[18:19], off offset:2048
	s_or_b64 exec, exec, s[0:1]
	s_and_saveexec_b64 s[0:1], s[12:13]
	s_cbranch_execz .LBB5_41
.LBB5_56:
	s_waitcnt lgkmcnt(5)
	v_add_co_u32_e32 v8, vcc, 0x3000, v26
	s_nop 1
	v_addc_co_u32_e32 v9, vcc, 0, v27, vcc
	s_waitcnt lgkmcnt(4)
	global_store_dwordx2 v[8:9], v[12:13], off
	s_or_b64 exec, exec, s[0:1]
	s_and_saveexec_b64 s[0:1], s[14:15]
	s_cbranch_execz .LBB5_42
.LBB5_57:
	s_waitcnt lgkmcnt(5)
	v_add_co_u32_e32 v8, vcc, 0x3000, v26
	s_nop 1
	v_addc_co_u32_e32 v9, vcc, 0, v27, vcc
	s_waitcnt lgkmcnt(4)
	global_store_dwordx2 v[8:9], v[14:15], off offset:2048
	s_or_b64 exec, exec, s[0:1]
	s_and_saveexec_b64 s[0:1], s[16:17]
	s_cbranch_execz .LBB5_43
.LBB5_58:
	s_waitcnt lgkmcnt(5)
	v_add_co_u32_e32 v8, vcc, 0x4000, v26
	s_nop 1
	v_addc_co_u32_e32 v9, vcc, 0, v27, vcc
	global_store_dwordx2 v[8:9], v[10:11], off
	s_or_b64 exec, exec, s[0:1]
	s_and_saveexec_b64 s[0:1], s[18:19]
	s_cbranch_execz .LBB5_44
.LBB5_59:
	s_waitcnt lgkmcnt(5)
	v_add_co_u32_e32 v8, vcc, 0x4000, v26
	s_nop 1
	v_addc_co_u32_e32 v9, vcc, 0, v27, vcc
	s_waitcnt lgkmcnt(3)
	global_store_dwordx2 v[8:9], v[4:5], off offset:2048
	s_or_b64 exec, exec, s[0:1]
	s_and_saveexec_b64 s[0:1], s[20:21]
	s_cbranch_execz .LBB5_45
.LBB5_60:
	s_waitcnt lgkmcnt(3)
	v_add_co_u32_e32 v4, vcc, 0x5000, v26
	s_nop 1
	v_addc_co_u32_e32 v5, vcc, 0, v27, vcc
	global_store_dwordx2 v[4:5], v[6:7], off
	s_or_b64 exec, exec, s[0:1]
	s_and_saveexec_b64 s[0:1], s[22:23]
	s_cbranch_execz .LBB5_46
.LBB5_61:
	s_waitcnt lgkmcnt(3)
	v_add_co_u32_e32 v4, vcc, 0x5000, v26
	s_nop 1
	v_addc_co_u32_e32 v5, vcc, 0, v27, vcc
	s_waitcnt lgkmcnt(2)
	global_store_dwordx2 v[4:5], v[0:1], off offset:2048
	s_or_b64 exec, exec, s[0:1]
	s_and_saveexec_b64 s[0:1], s[24:25]
	s_cbranch_execz .LBB5_47
.LBB5_62:
	s_waitcnt lgkmcnt(2)
	v_add_co_u32_e32 v0, vcc, 0x6000, v26
	s_nop 1
	v_addc_co_u32_e32 v1, vcc, 0, v27, vcc
	s_waitcnt lgkmcnt(1)
	global_store_dwordx2 v[0:1], v[28:29], off
	s_or_b64 exec, exec, s[0:1]
	s_and_saveexec_b64 s[0:1], s[26:27]
	s_cbranch_execz .LBB5_48
.LBB5_63:
	s_waitcnt lgkmcnt(2)
	v_add_co_u32_e32 v0, vcc, 0x6000, v26
	s_nop 1
	v_addc_co_u32_e32 v1, vcc, 0, v27, vcc
	global_store_dwordx2 v[0:1], v[2:3], off offset:2048
	s_or_b64 exec, exec, s[0:1]
	s_and_saveexec_b64 s[0:1], s[28:29]
	s_cbranch_execz .LBB5_49
.LBB5_64:
	s_waitcnt lgkmcnt(2)
	v_add_co_u32_e32 v0, vcc, 0x7000, v26
	s_nop 1
	v_addc_co_u32_e32 v1, vcc, 0, v27, vcc
	s_waitcnt lgkmcnt(0)
	global_store_dwordx2 v[0:1], v[24:25], off
	s_endpgm
	.section	.rodata,"a",@progbits
	.p2align	6, 0x0
	.amdhsa_kernel _ZN7rocprim6detail18single_scan_kernelILb1ENS0_19wrapped_scan_configINS_14default_configEdEEPdS5_N4RAJA9operators4plusIdddEEddEEvT1_mT4_T2_T3_
		.amdhsa_group_segment_fixed_size 30720
		.amdhsa_private_segment_fixed_size 0
		.amdhsa_kernarg_size 36
		.amdhsa_user_sgpr_count 2
		.amdhsa_user_sgpr_dispatch_ptr 0
		.amdhsa_user_sgpr_queue_ptr 0
		.amdhsa_user_sgpr_kernarg_segment_ptr 1
		.amdhsa_user_sgpr_dispatch_id 0
		.amdhsa_user_sgpr_kernarg_preload_length 0
		.amdhsa_user_sgpr_kernarg_preload_offset 0
		.amdhsa_user_sgpr_private_segment_size 0
		.amdhsa_uses_dynamic_stack 0
		.amdhsa_enable_private_segment 0
		.amdhsa_system_sgpr_workgroup_id_x 1
		.amdhsa_system_sgpr_workgroup_id_y 0
		.amdhsa_system_sgpr_workgroup_id_z 0
		.amdhsa_system_sgpr_workgroup_info 0
		.amdhsa_system_vgpr_workitem_id 0
		.amdhsa_next_free_vgpr 48
		.amdhsa_next_free_sgpr 76
		.amdhsa_accum_offset 48
		.amdhsa_reserve_vcc 1
		.amdhsa_float_round_mode_32 0
		.amdhsa_float_round_mode_16_64 0
		.amdhsa_float_denorm_mode_32 3
		.amdhsa_float_denorm_mode_16_64 3
		.amdhsa_dx10_clamp 1
		.amdhsa_ieee_mode 1
		.amdhsa_fp16_overflow 0
		.amdhsa_tg_split 0
		.amdhsa_exception_fp_ieee_invalid_op 0
		.amdhsa_exception_fp_denorm_src 0
		.amdhsa_exception_fp_ieee_div_zero 0
		.amdhsa_exception_fp_ieee_overflow 0
		.amdhsa_exception_fp_ieee_underflow 0
		.amdhsa_exception_fp_ieee_inexact 0
		.amdhsa_exception_int_div_zero 0
	.end_amdhsa_kernel
	.section	.text._ZN7rocprim6detail18single_scan_kernelILb1ENS0_19wrapped_scan_configINS_14default_configEdEEPdS5_N4RAJA9operators4plusIdddEEddEEvT1_mT4_T2_T3_,"axG",@progbits,_ZN7rocprim6detail18single_scan_kernelILb1ENS0_19wrapped_scan_configINS_14default_configEdEEPdS5_N4RAJA9operators4plusIdddEEddEEvT1_mT4_T2_T3_,comdat
.Lfunc_end5:
	.size	_ZN7rocprim6detail18single_scan_kernelILb1ENS0_19wrapped_scan_configINS_14default_configEdEEPdS5_N4RAJA9operators4plusIdddEEddEEvT1_mT4_T2_T3_, .Lfunc_end5-_ZN7rocprim6detail18single_scan_kernelILb1ENS0_19wrapped_scan_configINS_14default_configEdEEPdS5_N4RAJA9operators4plusIdddEEddEEvT1_mT4_T2_T3_
                                        ; -- End function
	.section	.AMDGPU.csdata,"",@progbits
; Kernel info:
; codeLenInByte = 2948
; NumSgprs: 82
; NumVgprs: 48
; NumAgprs: 0
; TotalNumVgprs: 48
; ScratchSize: 0
; MemoryBound: 1
; FloatMode: 240
; IeeeMode: 1
; LDSByteSize: 30720 bytes/workgroup (compile time only)
; SGPRBlocks: 10
; VGPRBlocks: 5
; NumSGPRsForWavesPerEU: 82
; NumVGPRsForWavesPerEU: 48
; AccumOffset: 48
; Occupancy: 2
; WaveLimiterHint : 0
; COMPUTE_PGM_RSRC2:SCRATCH_EN: 0
; COMPUTE_PGM_RSRC2:USER_SGPR: 2
; COMPUTE_PGM_RSRC2:TRAP_HANDLER: 0
; COMPUTE_PGM_RSRC2:TGID_X_EN: 1
; COMPUTE_PGM_RSRC2:TGID_Y_EN: 0
; COMPUTE_PGM_RSRC2:TGID_Z_EN: 0
; COMPUTE_PGM_RSRC2:TIDIG_COMP_CNT: 0
; COMPUTE_PGM_RSRC3_GFX90A:ACCUM_OFFSET: 11
; COMPUTE_PGM_RSRC3_GFX90A:TG_SPLIT: 0
	.section	.text._ZN8rajaperf9algorithm11scan_customILm256ELm15EEEvPdS2_S2_S2_Pjl,"axG",@progbits,_ZN8rajaperf9algorithm11scan_customILm256ELm15EEEvPdS2_S2_S2_Pjl,comdat
	.protected	_ZN8rajaperf9algorithm11scan_customILm256ELm15EEEvPdS2_S2_S2_Pjl ; -- Begin function _ZN8rajaperf9algorithm11scan_customILm256ELm15EEEvPdS2_S2_S2_Pjl
	.globl	_ZN8rajaperf9algorithm11scan_customILm256ELm15EEEvPdS2_S2_S2_Pjl
	.p2align	8
	.type	_ZN8rajaperf9algorithm11scan_customILm256ELm15EEEvPdS2_S2_S2_Pjl,@function
_ZN8rajaperf9algorithm11scan_customILm256ELm15EEEvPdS2_S2_S2_Pjl: ; @_ZN8rajaperf9algorithm11scan_customILm256ELm15EEEvPdS2_S2_S2_Pjl
; %bb.0:
	s_load_dwordx8 s[40:47], s[0:1], 0x0
	s_load_dwordx4 s[48:51], s[0:1], 0x20
	s_mul_hi_i32 s3, s2, 0xf00
	s_mul_i32 s4, s2, 0xf00
	v_or_b32_e32 v30, s4, v0
	v_mov_b32_e32 v31, s3
	v_mov_b64_e32 v[2:3], 0
	s_waitcnt lgkmcnt(0)
	v_cmp_gt_i64_e64 s[36:37], s[50:51], v[30:31]
	v_mov_b64_e32 v[4:5], v[2:3]
	s_and_saveexec_b64 s[4:5], s[36:37]
	s_cbranch_execz .LBB6_2
; %bb.1:
	v_lshl_add_u64 v[4:5], v[30:31], 3, s[40:41]
	global_load_dwordx2 v[4:5], v[4:5], off
.LBB6_2:
	s_or_b64 exec, exec, s[4:5]
	s_mov_b64 s[4:5], 0x100
	v_lshl_add_u64 v[6:7], v[30:31], 0, s[4:5]
	v_cmp_gt_i64_e64 s[30:31], s[50:51], v[6:7]
	s_and_saveexec_b64 s[4:5], s[30:31]
	s_cbranch_execz .LBB6_4
; %bb.3:
	v_lshl_add_u64 v[2:3], v[30:31], 3, s[40:41]
	global_load_dwordx2 v[2:3], v[2:3], off offset:2048
.LBB6_4:
	s_or_b64 exec, exec, s[4:5]
	s_mov_b64 s[4:5], 0x200
	v_lshl_add_u64 v[32:33], v[30:31], 0, s[4:5]
	v_mov_b64_e32 v[6:7], 0
	v_cmp_gt_i64_e64 s[4:5], s[50:51], v[32:33]
	v_mov_b64_e32 v[8:9], v[6:7]
	s_and_saveexec_b64 s[6:7], s[4:5]
	s_cbranch_execz .LBB6_6
; %bb.5:
	v_lshl_add_u64 v[8:9], v[32:33], 3, s[40:41]
	global_load_dwordx2 v[8:9], v[8:9], off
.LBB6_6:
	s_or_b64 exec, exec, s[6:7]
	s_mov_b64 s[6:7], 0x300
	v_lshl_add_u64 v[34:35], v[30:31], 0, s[6:7]
	v_cmp_gt_i64_e64 s[6:7], s[50:51], v[34:35]
	s_and_saveexec_b64 s[8:9], s[6:7]
	s_cbranch_execz .LBB6_8
; %bb.7:
	v_lshl_add_u64 v[6:7], v[34:35], 3, s[40:41]
	global_load_dwordx2 v[6:7], v[6:7], off
.LBB6_8:
	s_or_b64 exec, exec, s[8:9]
	s_mov_b64 s[8:9], 0x400
	v_lshl_add_u64 v[36:37], v[30:31], 0, s[8:9]
	v_mov_b64_e32 v[10:11], 0
	v_cmp_gt_i64_e64 s[8:9], s[50:51], v[36:37]
	v_mov_b64_e32 v[12:13], v[10:11]
	s_and_saveexec_b64 s[10:11], s[8:9]
	s_cbranch_execz .LBB6_10
; %bb.9:
	v_lshl_add_u64 v[12:13], v[36:37], 3, s[40:41]
	global_load_dwordx2 v[12:13], v[12:13], off
.LBB6_10:
	s_or_b64 exec, exec, s[10:11]
	s_mov_b64 s[10:11], 0x500
	v_lshl_add_u64 v[38:39], v[30:31], 0, s[10:11]
	v_cmp_gt_i64_e64 s[10:11], s[50:51], v[38:39]
	s_and_saveexec_b64 s[12:13], s[10:11]
	s_cbranch_execz .LBB6_12
; %bb.11:
	v_lshl_add_u64 v[10:11], v[38:39], 3, s[40:41]
	global_load_dwordx2 v[10:11], v[10:11], off
.LBB6_12:
	s_or_b64 exec, exec, s[12:13]
	s_mov_b64 s[12:13], 0x600
	v_lshl_add_u64 v[40:41], v[30:31], 0, s[12:13]
	v_mov_b64_e32 v[14:15], 0
	v_cmp_gt_i64_e64 s[12:13], s[50:51], v[40:41]
	v_mov_b64_e32 v[16:17], v[14:15]
	s_and_saveexec_b64 s[14:15], s[12:13]
	s_cbranch_execz .LBB6_14
; %bb.13:
	v_lshl_add_u64 v[16:17], v[40:41], 3, s[40:41]
	global_load_dwordx2 v[16:17], v[16:17], off
.LBB6_14:
	s_or_b64 exec, exec, s[14:15]
	s_mov_b64 s[14:15], 0x700
	v_lshl_add_u64 v[42:43], v[30:31], 0, s[14:15]
	v_cmp_gt_i64_e64 s[14:15], s[50:51], v[42:43]
	s_and_saveexec_b64 s[16:17], s[14:15]
	s_cbranch_execz .LBB6_16
; %bb.15:
	v_lshl_add_u64 v[14:15], v[42:43], 3, s[40:41]
	global_load_dwordx2 v[14:15], v[14:15], off
.LBB6_16:
	s_or_b64 exec, exec, s[16:17]
	s_mov_b64 s[16:17], 0x800
	v_lshl_add_u64 v[44:45], v[30:31], 0, s[16:17]
	v_mov_b64_e32 v[18:19], 0
	v_cmp_gt_i64_e64 s[16:17], s[50:51], v[44:45]
	v_mov_b64_e32 v[20:21], v[18:19]
	s_and_saveexec_b64 s[18:19], s[16:17]
	s_cbranch_execz .LBB6_18
; %bb.17:
	v_lshl_add_u64 v[20:21], v[44:45], 3, s[40:41]
	global_load_dwordx2 v[20:21], v[20:21], off
.LBB6_18:
	s_or_b64 exec, exec, s[18:19]
	s_mov_b64 s[18:19], 0x900
	v_lshl_add_u64 v[46:47], v[30:31], 0, s[18:19]
	v_cmp_gt_i64_e64 s[18:19], s[50:51], v[46:47]
	s_and_saveexec_b64 s[20:21], s[18:19]
	s_cbranch_execz .LBB6_20
; %bb.19:
	v_lshl_add_u64 v[18:19], v[46:47], 3, s[40:41]
	global_load_dwordx2 v[18:19], v[18:19], off
.LBB6_20:
	s_or_b64 exec, exec, s[20:21]
	s_mov_b64 s[20:21], 0xa00
	v_lshl_add_u64 v[48:49], v[30:31], 0, s[20:21]
	v_mov_b64_e32 v[22:23], 0
	v_cmp_gt_i64_e64 s[20:21], s[50:51], v[48:49]
	v_mov_b64_e32 v[24:25], v[22:23]
	s_and_saveexec_b64 s[22:23], s[20:21]
	s_cbranch_execz .LBB6_22
; %bb.21:
	v_lshl_add_u64 v[24:25], v[48:49], 3, s[40:41]
	global_load_dwordx2 v[24:25], v[24:25], off
.LBB6_22:
	s_or_b64 exec, exec, s[22:23]
	s_mov_b64 s[22:23], 0xb00
	v_lshl_add_u64 v[50:51], v[30:31], 0, s[22:23]
	v_cmp_gt_i64_e64 s[22:23], s[50:51], v[50:51]
	s_and_saveexec_b64 s[24:25], s[22:23]
	s_cbranch_execz .LBB6_24
; %bb.23:
	v_lshl_add_u64 v[22:23], v[50:51], 3, s[40:41]
	global_load_dwordx2 v[22:23], v[22:23], off
.LBB6_24:
	s_or_b64 exec, exec, s[24:25]
	s_mov_b64 s[24:25], 0xc00
	v_lshl_add_u64 v[52:53], v[30:31], 0, s[24:25]
	v_mov_b64_e32 v[26:27], 0
	v_cmp_gt_i64_e64 s[24:25], s[50:51], v[52:53]
	v_mov_b64_e32 v[28:29], v[26:27]
	s_and_saveexec_b64 s[26:27], s[24:25]
	s_cbranch_execz .LBB6_26
; %bb.25:
	v_lshl_add_u64 v[28:29], v[52:53], 3, s[40:41]
	global_load_dwordx2 v[28:29], v[28:29], off
.LBB6_26:
	s_or_b64 exec, exec, s[26:27]
	s_mov_b64 s[26:27], 0xd00
	v_lshl_add_u64 v[54:55], v[30:31], 0, s[26:27]
	v_cmp_gt_i64_e64 s[26:27], s[50:51], v[54:55]
	s_and_saveexec_b64 s[28:29], s[26:27]
	s_cbranch_execz .LBB6_28
; %bb.27:
	v_lshl_add_u64 v[26:27], v[54:55], 3, s[40:41]
	global_load_dwordx2 v[26:27], v[26:27], off
.LBB6_28:
	s_or_b64 exec, exec, s[28:29]
	s_mov_b64 s[28:29], 0xe00
	v_lshl_add_u64 v[56:57], v[30:31], 0, s[28:29]
	v_cmp_gt_i64_e64 s[28:29], s[50:51], v[56:57]
	v_mov_b64_e32 v[58:59], 0
	s_and_saveexec_b64 s[34:35], s[28:29]
	s_cbranch_execz .LBB6_30
; %bb.29:
	v_lshl_add_u64 v[58:59], v[56:57], 3, s[40:41]
	global_load_dwordx2 v[58:59], v[58:59], off
.LBB6_30:
	s_or_b64 exec, exec, s[34:35]
	s_load_dword s33, s[0:1], 0x30
	v_lshlrev_b32_e32 v69, 3, v0
	s_movk_i32 s0, 0x70
	v_mad_u32_u24 v1, v0, s0, v69
	s_waitcnt vmcnt(0)
	ds_write2st64_b64 v69, v[4:5], v[2:3] offset1:4
	ds_write2st64_b64 v69, v[8:9], v[6:7] offset0:8 offset1:12
	ds_write2st64_b64 v69, v[12:13], v[10:11] offset0:16 offset1:20
	;; [unrolled: 1-line block ×6, first 2 shown]
	ds_write_b64 v69, v[58:59] offset:28672
	s_waitcnt lgkmcnt(0)
	s_barrier
	ds_read2_b64 v[2:5], v1 offset1:1
	ds_read2_b64 v[6:9], v1 offset0:2 offset1:3
	ds_read2_b64 v[10:13], v1 offset0:4 offset1:5
	ds_read2_b64 v[14:17], v1 offset0:6 offset1:7
	ds_read2_b64 v[18:21], v1 offset0:8 offset1:9
	ds_read2_b64 v[22:25], v1 offset0:10 offset1:11
	ds_read2_b64 v[26:29], v1 offset0:12 offset1:13
	ds_read_b64 v[58:59], v1 offset:112
	s_waitcnt lgkmcnt(7)
	v_add_f64 v[60:61], v[2:3], v[4:5]
	s_waitcnt lgkmcnt(6)
	v_add_f64 v[60:61], v[60:61], v[6:7]
	v_add_f64 v[60:61], v[60:61], v[8:9]
	s_waitcnt lgkmcnt(5)
	v_add_f64 v[60:61], v[60:61], v[10:11]
	;; [unrolled: 3-line block ×6, first 2 shown]
	v_add_f64 v[60:61], v[60:61], v[28:29]
	v_mbcnt_lo_u32_b32 v62, -1, 0
	s_waitcnt lgkmcnt(0)
	v_add_f64 v[60:61], v[60:61], v[58:59]
	v_mbcnt_hi_u32_b32 v68, -1, v62
	v_and_b32_e32 v66, 15, v68
	v_mov_b32_dpp v62, v60 row_shr:1 row_mask:0xf bank_mask:0xf
	v_mov_b32_dpp v63, v61 row_shr:1 row_mask:0xf bank_mask:0xf
	v_add_f64 v[62:63], v[60:61], v[62:63]
	v_cmp_eq_u32_e32 vcc, 0, v66
	v_and_b32_e32 v70, 16, v68
	v_cmp_eq_u32_e64 s[0:1], 0, v70
	v_cndmask_b32_e32 v62, v62, v60, vcc
	v_cndmask_b32_e32 v63, v63, v61, vcc
	v_cmp_lt_u32_e32 vcc, 1, v66
	v_mov_b32_dpp v64, v62 row_shr:2 row_mask:0xf bank_mask:0xf
	v_mov_b32_dpp v65, v63 row_shr:2 row_mask:0xf bank_mask:0xf
	v_add_f64 v[64:65], v[62:63], v[64:65]
	v_cndmask_b32_e32 v62, v62, v64, vcc
	v_cndmask_b32_e32 v63, v63, v65, vcc
	v_cmp_lt_u32_e32 vcc, 3, v66
	v_mov_b32_dpp v64, v62 row_shr:4 row_mask:0xf bank_mask:0xf
	v_mov_b32_dpp v65, v63 row_shr:4 row_mask:0xf bank_mask:0xf
	v_add_f64 v[64:65], v[62:63], v[64:65]
	;; [unrolled: 6-line block ×3, first 2 shown]
	v_cndmask_b32_e32 v62, v62, v64, vcc
	v_cndmask_b32_e32 v63, v63, v65, vcc
	v_cmp_eq_u32_e32 vcc, 0, v68
	v_mov_b32_dpp v64, v62 row_bcast:15 row_mask:0xf bank_mask:0xf
	v_mov_b32_dpp v65, v63 row_bcast:15 row_mask:0xf bank_mask:0xf
	v_add_f64 v[66:67], v[62:63], v[64:65]
	v_cndmask_b32_e64 v65, v67, v63, s[0:1]
	v_cndmask_b32_e64 v64, v66, v62, s[0:1]
	v_cmp_ne_u32_e64 s[34:35], 0, v68
	v_mov_b32_dpp v65, v65 row_bcast:31 row_mask:0xf bank_mask:0xf
	v_mov_b32_dpp v64, v64 row_bcast:31 row_mask:0xf bank_mask:0xf
	s_barrier
	s_and_saveexec_b64 s[38:39], s[34:35]
	s_xor_b64 s[34:35], exec, s[38:39]
; %bb.31:
	v_cndmask_b32_e64 v61, v67, v63, s[0:1]
	v_cndmask_b32_e64 v60, v66, v62, s[0:1]
	v_add_f64 v[62:63], v[60:61], v[64:65]
	v_cmp_lt_u32_e64 s[0:1], 31, v68
	s_nop 1
	v_cndmask_b32_e64 v61, v61, v63, s[0:1]
	v_cndmask_b32_e64 v60, v60, v62, s[0:1]
; %bb.32:
	s_or_b64 exec, exec, s[34:35]
	v_or_b32_e32 v62, 63, v0
	s_ashr_i32 s3, s2, 31
	v_lshrrev_b32_e32 v64, 6, v0
	v_cmp_eq_u32_e64 s[0:1], v62, v0
	s_and_saveexec_b64 s[34:35], s[0:1]
	s_cbranch_execz .LBB6_34
; %bb.33:
	v_lshlrev_b32_e32 v62, 3, v64
	ds_write_b64 v62, v[60:61]
.LBB6_34:
	s_or_b64 exec, exec, s[34:35]
	v_cmp_gt_u32_e64 s[0:1], 4, v0
	s_waitcnt lgkmcnt(0)
	s_barrier
	s_and_saveexec_b64 s[34:35], s[0:1]
	s_cbranch_execz .LBB6_36
; %bb.35:
	ds_read_b64 v[62:63], v69
	v_and_b32_e32 v65, 3, v68
	v_cmp_eq_u32_e64 s[0:1], 0, v65
	s_waitcnt lgkmcnt(0)
	v_mov_b32_dpp v66, v62 row_shr:1 row_mask:0xf bank_mask:0xf
	v_mov_b32_dpp v67, v63 row_shr:1 row_mask:0xf bank_mask:0xf
	v_add_f64 v[66:67], v[62:63], v[66:67]
	v_cndmask_b32_e64 v63, v67, v63, s[0:1]
	v_cndmask_b32_e64 v62, v66, v62, s[0:1]
	v_cmp_lt_u32_e64 s[0:1], 1, v65
	v_mov_b32_dpp v67, v63 row_shr:2 row_mask:0xf bank_mask:0xf
	v_mov_b32_dpp v66, v62 row_shr:2 row_mask:0xf bank_mask:0xf
	v_add_f64 v[66:67], v[62:63], v[66:67]
	v_cndmask_b32_e64 v63, v63, v67, s[0:1]
	v_cndmask_b32_e64 v62, v62, v66, s[0:1]
	ds_write_b64 v69, v[62:63]
.LBB6_36:
	s_or_b64 exec, exec, s[34:35]
	v_cmp_lt_u32_e64 s[0:1], 63, v0
	v_mov_b64_e32 v[62:63], 0
	s_waitcnt lgkmcnt(0)
	s_barrier
	s_and_saveexec_b64 s[34:35], s[0:1]
	s_cbranch_execz .LBB6_38
; %bb.37:
	v_lshl_add_u32 v62, v64, 3, -8
	ds_read_b64 v[62:63], v62
	s_waitcnt lgkmcnt(0)
	v_add_f64 v[62:63], v[62:63], 0
.LBB6_38:
	s_or_b64 exec, exec, s[34:35]
	v_add_u32_e32 v64, -1, v68
	v_and_b32_e32 v65, 64, v68
	v_cmp_lt_i32_e64 s[0:1], v64, v65
	v_add_f64 v[60:61], v[60:61], v[62:63]
	s_nop 0
	v_cndmask_b32_e64 v64, v64, v68, s[0:1]
	v_lshlrev_b32_e32 v64, 2, v64
	ds_bpermute_b32 v60, v64, v60
	ds_bpermute_b32 v61, v64, v61
	s_movk_i32 s0, 0xff
	v_cmp_eq_u32_e64 s[34:35], s0, v0
	s_movk_i32 s0, 0xff90
	s_waitcnt lgkmcnt(1)
	v_cndmask_b32_e32 v60, v60, v62, vcc
	s_waitcnt lgkmcnt(0)
	v_cndmask_b32_e32 v61, v61, v63, vcc
	v_cmp_ne_u32_e32 vcc, 0, v0
	s_barrier
	s_nop 0
	v_cndmask_b32_e32 v61, 0, v61, vcc
	v_cndmask_b32_e32 v60, 0, v60, vcc
	v_add_f64 v[62:63], v[2:3], v[60:61]
	v_add_f64 v[64:65], v[4:5], v[62:63]
	;; [unrolled: 1-line block ×14, first 2 shown]
	ds_write2_b64 v1, v[60:61], v[62:63] offset1:1
	ds_write2_b64 v1, v[64:65], v[66:67] offset0:2 offset1:3
	ds_write2_b64 v1, v[70:71], v[72:73] offset0:4 offset1:5
	;; [unrolled: 1-line block ×6, first 2 shown]
	ds_write_b64 v1, v[90:91] offset:112
	v_mad_i32_i24 v60, v0, s0, v1
	v_add_f64 v[92:93], v[58:59], v[90:91]
	s_waitcnt lgkmcnt(0)
	s_barrier
	ds_read2st64_b64 v[2:5], v69 offset1:16
	ds_read2st64_b64 v[10:13], v60 offset0:4 offset1:8
	ds_read2st64_b64 v[14:17], v60 offset0:12 offset1:20
	;; [unrolled: 1-line block ×6, first 2 shown]
	ds_read_b64 v[58:59], v60 offset:28672
	s_add_i32 s33, s33, -1
	s_waitcnt lgkmcnt(0)
	s_barrier
	ds_write2_b64 v1, v[62:63], v[64:65] offset1:1
	ds_write2_b64 v1, v[66:67], v[70:71] offset0:2 offset1:3
	ds_write2_b64 v1, v[72:73], v[74:75] offset0:4 offset1:5
	;; [unrolled: 1-line block ×6, first 2 shown]
	ds_write_b64 v1, v[92:93] offset:112
	s_waitcnt lgkmcnt(0)
	s_barrier
	ds_read_b64 v[60:61], v60 offset:28672
	s_cmp_lg_u32 s33, s2
	s_cselect_b64 s[50:51], -1, 0
	s_and_b64 s[40:41], s[34:35], s[50:51]
	s_cmp_lg_u32 s2, 0
	s_waitcnt lgkmcnt(0)
	s_barrier
	s_cbranch_scc0 .LBB6_49
; %bb.39:
	s_and_saveexec_b64 s[0:1], s[40:41]
	s_cbranch_execz .LBB6_41
; %bb.40:
	s_lshl_b64 s[38:39], s[2:3], 3
	s_add_u32 s38, s44, s38
	s_addc_u32 s39, s45, s39
	s_lshl_b64 s[52:53], s[2:3], 2
	s_add_u32 s52, s48, s52
	v_mov_b32_e32 v1, 0
	s_addc_u32 s53, s49, s53
	v_mov_b32_e32 v62, 1
	global_store_dwordx2 v1, v[60:61], s[38:39]
	buffer_wbl2 sc1
	s_waitcnt vmcnt(0)
	buffer_inv sc1
	global_atomic_swap v1, v62, s[52:53]
.LBB6_41:
	s_or_b64 exec, exec, s[0:1]
	s_movk_i32 s0, 0xbf
	v_cmp_lt_u32_e32 vcc, s0, v0
	s_and_saveexec_b64 s[52:53], vcc
	s_cbranch_execz .LBB6_65
; %bb.42:
	s_sub_i32 s33, s2, 64
	v_and_b32_e32 v69, 63, v0
	s_cmp_lt_i32 s33, 0
	v_mov_b32_e32 v63, 0
	s_cbranch_scc1 .LBB6_51
; %bb.43:
	v_mov_b32_e32 v64, 11
	v_mov_b64_e32 v[0:1], 0
	v_mov_b32_e32 v65, v64
	s_branch .LBB6_45
.LBB6_44:                               ;   in Loop: Header=BB6_45 Depth=1
	s_cmp_gt_i32 s33, -1
	s_cselect_b64 s[54:55], -1, 0
	s_and_b64 s[38:39], s[38:39], s[54:55]
	s_and_b64 vcc, exec, s[38:39]
	s_cbranch_vccz .LBB6_50
.LBB6_45:                               ; =>This Loop Header: Depth=1
                                        ;     Child Loop BB6_46 Depth 2
	v_add_u32_e32 v62, s33, v69
	v_lshl_add_u64 v[66:67], v[62:63], 2, s[48:49]
.LBB6_46:                               ;   Parent Loop BB6_45 Depth=1
                                        ; =>  This Inner Loop Header: Depth=2
	global_atomic_cmpswap v70, v[66:67], v[64:65], off sc0
	s_waitcnt vmcnt(0)
	v_cmp_ne_u32_e32 vcc, 0, v70
	s_cmp_lg_u64 vcc, -1
	s_cbranch_scc1 .LBB6_46
; %bb.47:                               ;   in Loop: Header=BB6_45 Depth=1
	v_cmp_eq_u32_e64 s[0:1], 2, v70
	s_cmp_eq_u64 s[0:1], 0
	s_cselect_b64 s[38:39], -1, 0
	s_mov_b64 vcc, s[0:1]
	s_cbranch_vccnz .LBB6_44
; %bb.48:                               ;   in Loop: Header=BB6_45 Depth=1
	v_lshl_add_u64 v[66:67], v[62:63], 3, s[44:45]
	buffer_wbl2 sc1
	buffer_inv sc1
	global_load_dwordx2 v[66:67], v[66:67], off
	s_sub_i32 s33, s33, 64
	v_mov_b32_e32 v70, 0
	s_waitcnt vmcnt(0)
	v_add_f64 v[0:1], v[0:1], v[66:67]
	s_branch .LBB6_44
.LBB6_49:
                                        ; implicit-def: $vgpr0_vgpr1
                                        ; implicit-def: $vgpr62_vgpr63
                                        ; implicit-def: $vgpr64_vgpr65
                                        ; implicit-def: $vgpr66_vgpr67
                                        ; implicit-def: $vgpr68_vgpr69
                                        ; implicit-def: $vgpr70_vgpr71
                                        ; implicit-def: $vgpr72_vgpr73
                                        ; implicit-def: $vgpr74_vgpr75
                                        ; implicit-def: $vgpr76_vgpr77
                                        ; implicit-def: $vgpr78_vgpr79
                                        ; implicit-def: $vgpr80_vgpr81
                                        ; implicit-def: $vgpr82_vgpr83
                                        ; implicit-def: $vgpr84_vgpr85
                                        ; implicit-def: $vgpr86_vgpr87
                                        ; implicit-def: $vgpr88_vgpr89
	s_cbranch_execnz .LBB6_66
	s_branch .LBB6_69
.LBB6_50:
	s_mov_b64 s[38:39], 0
	v_mov_b32_e32 v63, v70
	s_branch .LBB6_52
.LBB6_51:
	s_mov_b64 s[38:39], -1
	s_mov_b64 s[0:1], 0
	v_mov_b64_e32 v[0:1], 0
.LBB6_52:
	v_mov_b64_e32 v[66:67], s[38:39]
	v_cmp_gt_u64_e32 vcc, s[0:1], v[66:67]
	v_add_u32_e32 v64, s33, v69
	s_cbranch_vccnz .LBB6_57
; %bb.53:
	v_mov_b32_e32 v65, 0
	v_cmp_lt_i32_e64 s[38:39], -1, v64
	v_lshl_add_u64 v[66:67], v[64:65], 2, s[48:49]
	v_mov_b32_e32 v62, 11
	s_branch .LBB6_55
.LBB6_54:                               ;   in Loop: Header=BB6_55 Depth=1
	s_or_b64 exec, exec, s[0:1]
	s_waitcnt vmcnt(0)
	v_cmp_ne_u32_e32 vcc, 0, v63
	s_not_b64 s[54:55], vcc
	v_cmp_eq_u32_e64 s[0:1], 2, v63
	v_mov_b64_e32 v[70:71], s[54:55]
	s_nop 0
	v_cmp_le_u64_e32 vcc, s[0:1], v[70:71]
	s_cbranch_vccz .LBB6_57
.LBB6_55:                               ; =>This Inner Loop Header: Depth=1
	s_and_saveexec_b64 s[0:1], s[38:39]
	s_cbranch_execz .LBB6_54
; %bb.56:                               ;   in Loop: Header=BB6_55 Depth=1
	v_mov_b32_e32 v63, v62
	global_atomic_cmpswap v63, v[66:67], v[62:63], off sc0
	s_branch .LBB6_54
.LBB6_57:
	v_lshrrev_b64 v[62:63], v69, s[0:1]
	v_cmp_eq_u64_e64 s[38:39], 0, v[62:63]
	v_cmp_ne_u64_e32 vcc, 0, v[62:63]
	v_mov_b64_e32 v[62:63], s[44:45]
	buffer_wbl2 sc1
	s_waitcnt vmcnt(0)
	buffer_inv sc1
	s_and_saveexec_b64 s[54:55], vcc
; %bb.58:
	v_xor_b32_e32 v62, 63, v69
	v_lshrrev_b64 v[62:63], v62, -1
	v_cmp_le_u64_e32 vcc, s[0:1], v[62:63]
	s_andn2_b64 s[0:1], s[38:39], exec
	s_and_b64 s[38:39], vcc, exec
	v_mov_b64_e32 v[62:63], s[46:47]
	s_or_b64 s[38:39], s[0:1], s[38:39]
; %bb.59:
	s_or_b64 exec, exec, s[54:55]
	s_and_saveexec_b64 s[0:1], s[38:39]
	s_cbranch_execz .LBB6_61
; %bb.60:
	v_ashrrev_i32_e32 v65, 31, v64
	v_lshl_add_u64 v[62:63], v[64:65], 3, v[62:63]
	global_load_dwordx2 v[62:63], v[62:63], off
	s_waitcnt vmcnt(0)
	v_add_f64 v[0:1], v[0:1], v[62:63]
.LBB6_61:
	s_or_b64 exec, exec, s[0:1]
	s_nop 0
	v_mov_b32_dpp v62, v0 quad_perm:[1,0,3,2] row_mask:0xf bank_mask:0xf
	v_mov_b32_dpp v63, v1 quad_perm:[1,0,3,2] row_mask:0xf bank_mask:0xf
	v_add_f64 v[0:1], v[0:1], v[62:63]
	s_nop 1
	v_mov_b32_dpp v62, v0 quad_perm:[2,3,0,1] row_mask:0xf bank_mask:0xf
	v_mov_b32_dpp v63, v1 quad_perm:[2,3,0,1] row_mask:0xf bank_mask:0xf
	v_add_f64 v[0:1], v[0:1], v[62:63]
	s_nop 1
	v_mov_b32_dpp v62, v0 row_ror:4 row_mask:0xf bank_mask:0xf
	v_mov_b32_dpp v63, v1 row_ror:4 row_mask:0xf bank_mask:0xf
	v_add_f64 v[0:1], v[0:1], v[62:63]
	s_nop 1
	v_mov_b32_dpp v62, v0 row_ror:8 row_mask:0xf bank_mask:0xf
	v_mov_b32_dpp v63, v1 row_ror:8 row_mask:0xf bank_mask:0xf
	v_add_f64 v[0:1], v[0:1], v[62:63]
	s_nop 1
	v_mov_b32_dpp v62, v0 row_bcast:15 row_mask:0xf bank_mask:0xf
	v_mov_b32_dpp v63, v1 row_bcast:15 row_mask:0xf bank_mask:0xf
	v_add_f64 v[0:1], v[0:1], v[62:63]
	s_nop 1
	v_mov_b32_dpp v62, v0 row_bcast:31 row_mask:0xf bank_mask:0xf
	v_mov_b32_dpp v63, v1 row_bcast:31 row_mask:0xf bank_mask:0xf
	v_add_f64 v[0:1], v[0:1], v[62:63]
	v_lshlrev_b32_e32 v62, 2, v68
	v_or_b32_e32 v63, 0xfc, v62
	ds_bpermute_b32 v0, v63, v0
	ds_bpermute_b32 v1, v63, v1
	v_and_b32_e32 v62, 0x100, v62
	s_waitcnt lgkmcnt(1)
	ds_bpermute_b32 v0, v62, v0
	s_waitcnt lgkmcnt(1)
	ds_bpermute_b32 v1, v62, v1
	s_and_b64 exec, exec, s[34:35]
	s_cbranch_execz .LBB6_65
; %bb.62:
	s_andn2_b64 vcc, exec, s[50:51]
	s_cbranch_vccnz .LBB6_64
; %bb.63:
	s_lshl_b64 s[0:1], s[2:3], 2
	s_add_u32 s0, s48, s0
	s_addc_u32 s1, s49, s1
	s_lshl_b64 s[2:3], s[2:3], 3
	s_add_u32 s2, s46, s2
	v_mov_b32_e32 v64, 0
	s_addc_u32 s3, s47, s3
	s_waitcnt lgkmcnt(0)
	v_add_f64 v[62:63], v[60:61], v[0:1]
	global_store_dwordx2 v64, v[62:63], s[2:3]
	v_mov_b32_e32 v62, 2
	buffer_wbl2 sc1
	s_waitcnt vmcnt(0)
	buffer_inv sc1
	global_atomic_swap v64, v62, s[0:1]
.LBB6_64:
	s_mov_b64 s[0:1], src_shared_base
	v_mov_b32_e32 v62, 0
	v_mov_b32_e32 v63, s1
	s_waitcnt lgkmcnt(0)
	flat_store_dwordx2 v[62:63], v[0:1] sc0 sc1
	s_waitcnt vmcnt(0)
.LBB6_65:
	s_or_b64 exec, exec, s[52:53]
	s_mov_b64 s[0:1], src_shared_base
	s_waitcnt lgkmcnt(0)
	v_mov_b32_e32 v0, 0
	v_mov_b32_e32 v1, s1
	s_barrier
	flat_load_dwordx2 v[0:1], v[0:1] sc0 sc1
	s_waitcnt vmcnt(0)
	s_waitcnt lgkmcnt(0)
	v_add_f64 v[88:89], v[2:3], v[0:1]
	v_add_f64 v[86:87], v[10:11], v[0:1]
	;; [unrolled: 1-line block ×15, first 2 shown]
	s_branch .LBB6_69
.LBB6_66:
	s_and_saveexec_b64 s[0:1], s[40:41]
	s_cbranch_execz .LBB6_68
; %bb.67:
	v_mov_b32_e32 v0, 0
	v_mov_b32_e32 v1, 2
	global_store_dwordx2 v0, v[60:61], s[44:45]
	global_store_dwordx2 v0, v[60:61], s[46:47]
	buffer_wbl2 sc1
	s_waitcnt vmcnt(0)
	buffer_inv sc1
	global_atomic_swap v0, v1, s[48:49]
.LBB6_68:
	s_or_b64 exec, exec, s[0:1]
	v_mov_b64_e32 v[88:89], v[2:3]
	v_mov_b64_e32 v[86:87], v[10:11]
	;; [unrolled: 1-line block ×15, first 2 shown]
.LBB6_69:
	s_and_saveexec_b64 s[0:1], s[36:37]
	s_cbranch_execnz .LBB6_85
; %bb.70:
	s_or_b64 exec, exec, s[0:1]
	s_and_saveexec_b64 s[0:1], s[30:31]
	s_cbranch_execnz .LBB6_86
.LBB6_71:
	s_or_b64 exec, exec, s[0:1]
	s_and_saveexec_b64 s[0:1], s[4:5]
	s_cbranch_execnz .LBB6_87
.LBB6_72:
	s_or_b64 exec, exec, s[0:1]
	s_and_saveexec_b64 s[0:1], s[6:7]
	s_cbranch_execnz .LBB6_88
.LBB6_73:
	s_or_b64 exec, exec, s[0:1]
	s_and_saveexec_b64 s[0:1], s[8:9]
	s_cbranch_execnz .LBB6_89
.LBB6_74:
	s_or_b64 exec, exec, s[0:1]
	s_and_saveexec_b64 s[0:1], s[10:11]
	s_cbranch_execnz .LBB6_90
.LBB6_75:
	s_or_b64 exec, exec, s[0:1]
	s_and_saveexec_b64 s[0:1], s[12:13]
	s_cbranch_execnz .LBB6_91
.LBB6_76:
	s_or_b64 exec, exec, s[0:1]
	s_and_saveexec_b64 s[0:1], s[14:15]
	s_cbranch_execnz .LBB6_92
.LBB6_77:
	s_or_b64 exec, exec, s[0:1]
	s_and_saveexec_b64 s[0:1], s[16:17]
	s_cbranch_execnz .LBB6_93
.LBB6_78:
	s_or_b64 exec, exec, s[0:1]
	s_and_saveexec_b64 s[0:1], s[18:19]
	s_cbranch_execnz .LBB6_94
.LBB6_79:
	s_or_b64 exec, exec, s[0:1]
	s_and_saveexec_b64 s[0:1], s[20:21]
	s_cbranch_execnz .LBB6_95
.LBB6_80:
	s_or_b64 exec, exec, s[0:1]
	s_and_saveexec_b64 s[0:1], s[22:23]
	s_cbranch_execnz .LBB6_96
.LBB6_81:
	s_or_b64 exec, exec, s[0:1]
	s_and_saveexec_b64 s[0:1], s[24:25]
	s_cbranch_execnz .LBB6_97
.LBB6_82:
	s_or_b64 exec, exec, s[0:1]
	s_and_saveexec_b64 s[0:1], s[26:27]
	s_cbranch_execnz .LBB6_98
.LBB6_83:
	s_or_b64 exec, exec, s[0:1]
	s_and_saveexec_b64 s[0:1], s[28:29]
	s_cbranch_execnz .LBB6_99
.LBB6_84:
	s_endpgm
.LBB6_85:
	v_lshl_add_u64 v[2:3], v[30:31], 3, s[42:43]
	global_store_dwordx2 v[2:3], v[88:89], off
	s_or_b64 exec, exec, s[0:1]
	s_and_saveexec_b64 s[0:1], s[30:31]
	s_cbranch_execz .LBB6_71
.LBB6_86:
	v_lshl_add_u64 v[2:3], v[30:31], 3, s[42:43]
	global_store_dwordx2 v[2:3], v[86:87], off offset:2048
	s_or_b64 exec, exec, s[0:1]
	s_and_saveexec_b64 s[0:1], s[4:5]
	s_cbranch_execz .LBB6_72
.LBB6_87:
	v_lshl_add_u64 v[2:3], v[32:33], 3, s[42:43]
	global_store_dwordx2 v[2:3], v[84:85], off
	s_or_b64 exec, exec, s[0:1]
	s_and_saveexec_b64 s[0:1], s[6:7]
	s_cbranch_execz .LBB6_73
.LBB6_88:
	v_lshl_add_u64 v[2:3], v[34:35], 3, s[42:43]
	global_store_dwordx2 v[2:3], v[82:83], off
	s_or_b64 exec, exec, s[0:1]
	s_and_saveexec_b64 s[0:1], s[8:9]
	s_cbranch_execz .LBB6_74
.LBB6_89:
	v_lshl_add_u64 v[2:3], v[36:37], 3, s[42:43]
	global_store_dwordx2 v[2:3], v[80:81], off
	s_or_b64 exec, exec, s[0:1]
	s_and_saveexec_b64 s[0:1], s[10:11]
	s_cbranch_execz .LBB6_75
.LBB6_90:
	v_lshl_add_u64 v[2:3], v[38:39], 3, s[42:43]
	global_store_dwordx2 v[2:3], v[78:79], off
	s_or_b64 exec, exec, s[0:1]
	s_and_saveexec_b64 s[0:1], s[12:13]
	s_cbranch_execz .LBB6_76
.LBB6_91:
	v_lshl_add_u64 v[2:3], v[40:41], 3, s[42:43]
	global_store_dwordx2 v[2:3], v[76:77], off
	s_or_b64 exec, exec, s[0:1]
	s_and_saveexec_b64 s[0:1], s[14:15]
	s_cbranch_execz .LBB6_77
.LBB6_92:
	v_lshl_add_u64 v[2:3], v[42:43], 3, s[42:43]
	global_store_dwordx2 v[2:3], v[74:75], off
	s_or_b64 exec, exec, s[0:1]
	s_and_saveexec_b64 s[0:1], s[16:17]
	s_cbranch_execz .LBB6_78
.LBB6_93:
	v_lshl_add_u64 v[2:3], v[44:45], 3, s[42:43]
	global_store_dwordx2 v[2:3], v[72:73], off
	s_or_b64 exec, exec, s[0:1]
	s_and_saveexec_b64 s[0:1], s[18:19]
	s_cbranch_execz .LBB6_79
.LBB6_94:
	v_lshl_add_u64 v[2:3], v[46:47], 3, s[42:43]
	global_store_dwordx2 v[2:3], v[70:71], off
	s_or_b64 exec, exec, s[0:1]
	s_and_saveexec_b64 s[0:1], s[20:21]
	s_cbranch_execz .LBB6_80
.LBB6_95:
	v_lshl_add_u64 v[2:3], v[48:49], 3, s[42:43]
	global_store_dwordx2 v[2:3], v[68:69], off
	s_or_b64 exec, exec, s[0:1]
	s_and_saveexec_b64 s[0:1], s[22:23]
	s_cbranch_execz .LBB6_81
.LBB6_96:
	v_lshl_add_u64 v[2:3], v[50:51], 3, s[42:43]
	global_store_dwordx2 v[2:3], v[66:67], off
	s_or_b64 exec, exec, s[0:1]
	s_and_saveexec_b64 s[0:1], s[24:25]
	s_cbranch_execz .LBB6_82
.LBB6_97:
	v_lshl_add_u64 v[2:3], v[52:53], 3, s[42:43]
	global_store_dwordx2 v[2:3], v[64:65], off
	s_or_b64 exec, exec, s[0:1]
	s_and_saveexec_b64 s[0:1], s[26:27]
	s_cbranch_execz .LBB6_83
.LBB6_98:
	v_lshl_add_u64 v[2:3], v[54:55], 3, s[42:43]
	global_store_dwordx2 v[2:3], v[62:63], off
	s_or_b64 exec, exec, s[0:1]
	s_and_saveexec_b64 s[0:1], s[28:29]
	s_cbranch_execz .LBB6_84
.LBB6_99:
	v_lshl_add_u64 v[2:3], v[56:57], 3, s[42:43]
	global_store_dwordx2 v[2:3], v[0:1], off
	s_endpgm
	.section	.rodata,"a",@progbits
	.p2align	6, 0x0
	.amdhsa_kernel _ZN8rajaperf9algorithm11scan_customILm256ELm15EEEvPdS2_S2_S2_Pjl
		.amdhsa_group_segment_fixed_size 30720
		.amdhsa_private_segment_fixed_size 0
		.amdhsa_kernarg_size 304
		.amdhsa_user_sgpr_count 2
		.amdhsa_user_sgpr_dispatch_ptr 0
		.amdhsa_user_sgpr_queue_ptr 0
		.amdhsa_user_sgpr_kernarg_segment_ptr 1
		.amdhsa_user_sgpr_dispatch_id 0
		.amdhsa_user_sgpr_kernarg_preload_length 0
		.amdhsa_user_sgpr_kernarg_preload_offset 0
		.amdhsa_user_sgpr_private_segment_size 0
		.amdhsa_uses_dynamic_stack 0
		.amdhsa_enable_private_segment 0
		.amdhsa_system_sgpr_workgroup_id_x 1
		.amdhsa_system_sgpr_workgroup_id_y 0
		.amdhsa_system_sgpr_workgroup_id_z 0
		.amdhsa_system_sgpr_workgroup_info 0
		.amdhsa_system_vgpr_workitem_id 0
		.amdhsa_next_free_vgpr 94
		.amdhsa_next_free_sgpr 56
		.amdhsa_accum_offset 96
		.amdhsa_reserve_vcc 1
		.amdhsa_float_round_mode_32 0
		.amdhsa_float_round_mode_16_64 0
		.amdhsa_float_denorm_mode_32 3
		.amdhsa_float_denorm_mode_16_64 3
		.amdhsa_dx10_clamp 1
		.amdhsa_ieee_mode 1
		.amdhsa_fp16_overflow 0
		.amdhsa_tg_split 0
		.amdhsa_exception_fp_ieee_invalid_op 0
		.amdhsa_exception_fp_denorm_src 0
		.amdhsa_exception_fp_ieee_div_zero 0
		.amdhsa_exception_fp_ieee_overflow 0
		.amdhsa_exception_fp_ieee_underflow 0
		.amdhsa_exception_fp_ieee_inexact 0
		.amdhsa_exception_int_div_zero 0
	.end_amdhsa_kernel
	.section	.text._ZN8rajaperf9algorithm11scan_customILm256ELm15EEEvPdS2_S2_S2_Pjl,"axG",@progbits,_ZN8rajaperf9algorithm11scan_customILm256ELm15EEEvPdS2_S2_S2_Pjl,comdat
.Lfunc_end6:
	.size	_ZN8rajaperf9algorithm11scan_customILm256ELm15EEEvPdS2_S2_S2_Pjl, .Lfunc_end6-_ZN8rajaperf9algorithm11scan_customILm256ELm15EEEvPdS2_S2_S2_Pjl
                                        ; -- End function
	.section	.AMDGPU.csdata,"",@progbits
; Kernel info:
; codeLenInByte = 4000
; NumSgprs: 62
; NumVgprs: 94
; NumAgprs: 0
; TotalNumVgprs: 94
; ScratchSize: 0
; MemoryBound: 0
; FloatMode: 240
; IeeeMode: 1
; LDSByteSize: 30720 bytes/workgroup (compile time only)
; SGPRBlocks: 7
; VGPRBlocks: 11
; NumSGPRsForWavesPerEU: 62
; NumVGPRsForWavesPerEU: 94
; AccumOffset: 96
; Occupancy: 2
; WaveLimiterHint : 0
; COMPUTE_PGM_RSRC2:SCRATCH_EN: 0
; COMPUTE_PGM_RSRC2:USER_SGPR: 2
; COMPUTE_PGM_RSRC2:TRAP_HANDLER: 0
; COMPUTE_PGM_RSRC2:TGID_X_EN: 1
; COMPUTE_PGM_RSRC2:TGID_Y_EN: 0
; COMPUTE_PGM_RSRC2:TGID_Z_EN: 0
; COMPUTE_PGM_RSRC2:TIDIG_COMP_CNT: 0
; COMPUTE_PGM_RSRC3_GFX90A:ACCUM_OFFSET: 23
; COMPUTE_PGM_RSRC3_GFX90A:TG_SPLIT: 0
	.text
	.p2alignl 6, 3212836864
	.fill 256, 4, 3212836864
	.type	__hip_cuid_2a31b2494732b9dc,@object ; @__hip_cuid_2a31b2494732b9dc
	.section	.bss,"aw",@nobits
	.globl	__hip_cuid_2a31b2494732b9dc
__hip_cuid_2a31b2494732b9dc:
	.byte	0                               ; 0x0
	.size	__hip_cuid_2a31b2494732b9dc, 1

	.ident	"AMD clang version 19.0.0git (https://github.com/RadeonOpenCompute/llvm-project roc-6.4.0 25133 c7fe45cf4b819c5991fe208aaa96edf142730f1d)"
	.section	".note.GNU-stack","",@progbits
	.addrsig
	.addrsig_sym __hip_cuid_2a31b2494732b9dc
	.amdgpu_metadata
---
amdhsa.kernels:
  - .agpr_count:     0
    .args:
      - .address_space:  global
        .offset:         0
        .size:           8
        .value_kind:     global_buffer
      - .offset:         8
        .size:           4
        .value_kind:     by_value
      - .offset:         12
        .size:           4
        .value_kind:     by_value
      - .address_space:  global
        .offset:         16
        .size:           8
        .value_kind:     global_buffer
      - .offset:         24
        .size:           4
        .value_kind:     hidden_block_count_x
      - .offset:         28
        .size:           4
        .value_kind:     hidden_block_count_y
      - .offset:         32
        .size:           4
        .value_kind:     hidden_block_count_z
      - .offset:         36
        .size:           2
        .value_kind:     hidden_group_size_x
      - .offset:         38
        .size:           2
        .value_kind:     hidden_group_size_y
      - .offset:         40
        .size:           2
        .value_kind:     hidden_group_size_z
      - .offset:         42
        .size:           2
        .value_kind:     hidden_remainder_x
      - .offset:         44
        .size:           2
        .value_kind:     hidden_remainder_y
      - .offset:         46
        .size:           2
        .value_kind:     hidden_remainder_z
      - .offset:         64
        .size:           8
        .value_kind:     hidden_global_offset_x
      - .offset:         72
        .size:           8
        .value_kind:     hidden_global_offset_y
      - .offset:         80
        .size:           8
        .value_kind:     hidden_global_offset_z
      - .offset:         88
        .size:           2
        .value_kind:     hidden_grid_dims
    .group_segment_fixed_size: 0
    .kernarg_segment_align: 8
    .kernarg_segment_size: 280
    .language:       OpenCL C
    .language_version:
      - 2
      - 0
    .max_flat_workgroup_size: 256
    .name:           _ZN7rocprim6detail31init_lookback_scan_state_kernelINS0_19lookback_scan_stateIdLb1ELb1EEEEEvT_jjPNS4_10value_typeE
    .private_segment_fixed_size: 0
    .sgpr_count:     20
    .sgpr_spill_count: 0
    .symbol:         _ZN7rocprim6detail31init_lookback_scan_state_kernelINS0_19lookback_scan_stateIdLb1ELb1EEEEEvT_jjPNS4_10value_typeE.kd
    .uniform_work_group_size: 1
    .uses_dynamic_stack: false
    .vgpr_count:     10
    .vgpr_spill_count: 0
    .wavefront_size: 64
  - .agpr_count:     0
    .args:
      - .address_space:  global
        .offset:         0
        .size:           8
        .value_kind:     global_buffer
      - .offset:         8
        .size:           4
        .value_kind:     by_value
      - .offset:         12
        .size:           4
        .value_kind:     by_value
      - .address_space:  global
        .offset:         16
        .size:           8
        .value_kind:     global_buffer
      - .offset:         24
        .size:           4
        .value_kind:     hidden_block_count_x
      - .offset:         28
        .size:           4
        .value_kind:     hidden_block_count_y
      - .offset:         32
        .size:           4
        .value_kind:     hidden_block_count_z
      - .offset:         36
        .size:           2
        .value_kind:     hidden_group_size_x
      - .offset:         38
        .size:           2
        .value_kind:     hidden_group_size_y
      - .offset:         40
        .size:           2
        .value_kind:     hidden_group_size_z
      - .offset:         42
        .size:           2
        .value_kind:     hidden_remainder_x
      - .offset:         44
        .size:           2
        .value_kind:     hidden_remainder_y
      - .offset:         46
        .size:           2
        .value_kind:     hidden_remainder_z
      - .offset:         64
        .size:           8
        .value_kind:     hidden_global_offset_x
      - .offset:         72
        .size:           8
        .value_kind:     hidden_global_offset_y
      - .offset:         80
        .size:           8
        .value_kind:     hidden_global_offset_z
      - .offset:         88
        .size:           2
        .value_kind:     hidden_grid_dims
    .group_segment_fixed_size: 0
    .kernarg_segment_align: 8
    .kernarg_segment_size: 280
    .language:       OpenCL C
    .language_version:
      - 2
      - 0
    .max_flat_workgroup_size: 256
    .name:           _ZN7rocprim6detail31init_lookback_scan_state_kernelINS0_19lookback_scan_stateIdLb0ELb1EEEEEvT_jjPNS4_10value_typeE
    .private_segment_fixed_size: 0
    .sgpr_count:     20
    .sgpr_spill_count: 0
    .symbol:         _ZN7rocprim6detail31init_lookback_scan_state_kernelINS0_19lookback_scan_stateIdLb0ELb1EEEEEvT_jjPNS4_10value_typeE.kd
    .uniform_work_group_size: 1
    .uses_dynamic_stack: false
    .vgpr_count:     10
    .vgpr_spill_count: 0
    .wavefront_size: 64
  - .agpr_count:     0
    .args:
      - .address_space:  global
        .offset:         0
        .size:           8
        .value_kind:     global_buffer
      - .address_space:  global
        .offset:         8
        .size:           8
        .value_kind:     global_buffer
      - .offset:         16
        .size:           8
        .value_kind:     by_value
      - .offset:         24
        .size:           8
        .value_kind:     by_value
      - .offset:         32
        .size:           1
        .value_kind:     by_value
      - .address_space:  global
        .offset:         40
        .size:           8
        .value_kind:     global_buffer
      - .offset:         48
        .size:           4
        .value_kind:     by_value
      - .address_space:  global
        .offset:         56
        .size:           8
        .value_kind:     global_buffer
      - .address_space:  global
        .offset:         64
        .size:           8
        .value_kind:     global_buffer
      - .offset:         72
        .size:           1
        .value_kind:     by_value
      - .offset:         73
        .size:           1
        .value_kind:     by_value
    .group_segment_fixed_size: 0
    .kernarg_segment_align: 8
    .kernarg_segment_size: 76
    .language:       OpenCL C
    .language_version:
      - 2
      - 0
    .max_flat_workgroup_size: 256
    .name:           _ZN7rocprim6detail20lookback_scan_kernelILNS0_25lookback_scan_determinismE0ELb1ENS0_19wrapped_scan_configINS_14default_configEdEEPdS6_N4RAJA9operators4plusIdddEEddNS0_19lookback_scan_stateIdLb1ELb1EEEEEvT2_T3_mT5_T4_T7_jPT6_SJ_bb
    .private_segment_fixed_size: 0
    .sgpr_count:     6
    .sgpr_spill_count: 0
    .symbol:         _ZN7rocprim6detail20lookback_scan_kernelILNS0_25lookback_scan_determinismE0ELb1ENS0_19wrapped_scan_configINS_14default_configEdEEPdS6_N4RAJA9operators4plusIdddEEddNS0_19lookback_scan_stateIdLb1ELb1EEEEEvT2_T3_mT5_T4_T7_jPT6_SJ_bb.kd
    .uniform_work_group_size: 1
    .uses_dynamic_stack: false
    .vgpr_count:     0
    .vgpr_spill_count: 0
    .wavefront_size: 64
  - .agpr_count:     0
    .args:
      - .address_space:  global
        .offset:         0
        .size:           8
        .value_kind:     global_buffer
      - .address_space:  global
        .offset:         8
        .size:           8
        .value_kind:     global_buffer
      - .offset:         16
        .size:           8
        .value_kind:     by_value
      - .offset:         24
        .size:           8
        .value_kind:     by_value
      - .offset:         32
        .size:           1
        .value_kind:     by_value
      - .address_space:  global
        .offset:         40
        .size:           8
        .value_kind:     global_buffer
      - .offset:         48
        .size:           4
        .value_kind:     by_value
      - .address_space:  global
        .offset:         56
        .size:           8
        .value_kind:     global_buffer
      - .address_space:  global
        .offset:         64
        .size:           8
        .value_kind:     global_buffer
      - .offset:         72
        .size:           1
        .value_kind:     by_value
      - .offset:         73
        .size:           1
        .value_kind:     by_value
    .group_segment_fixed_size: 30720
    .kernarg_segment_align: 8
    .kernarg_segment_size: 76
    .language:       OpenCL C
    .language_version:
      - 2
      - 0
    .max_flat_workgroup_size: 256
    .name:           _ZN7rocprim6detail20lookback_scan_kernelILNS0_25lookback_scan_determinismE0ELb1ENS0_19wrapped_scan_configINS_14default_configEdEEPdS6_N4RAJA9operators4plusIdddEEddNS0_19lookback_scan_stateIdLb0ELb1EEEEEvT2_T3_mT5_T4_T7_jPT6_SJ_bb
    .private_segment_fixed_size: 0
    .sgpr_count:     74
    .sgpr_spill_count: 0
    .symbol:         _ZN7rocprim6detail20lookback_scan_kernelILNS0_25lookback_scan_determinismE0ELb1ENS0_19wrapped_scan_configINS_14default_configEdEEPdS6_N4RAJA9operators4plusIdddEEddNS0_19lookback_scan_stateIdLb0ELb1EEEEEvT2_T3_mT5_T4_T7_jPT6_SJ_bb.kd
    .uniform_work_group_size: 1
    .uses_dynamic_stack: false
    .vgpr_count:     69
    .vgpr_spill_count: 0
    .wavefront_size: 64
  - .agpr_count:     0
    .args:
      - .address_space:  global
        .offset:         0
        .size:           8
        .value_kind:     global_buffer
      - .offset:         8
        .size:           8
        .value_kind:     by_value
      - .address_space:  global
        .offset:         16
        .size:           8
        .value_kind:     global_buffer
      - .offset:         24
        .size:           1
        .value_kind:     by_value
      - .offset:         32
        .size:           4
        .value_kind:     hidden_block_count_x
      - .offset:         36
        .size:           4
        .value_kind:     hidden_block_count_y
      - .offset:         40
        .size:           4
        .value_kind:     hidden_block_count_z
      - .offset:         44
        .size:           2
        .value_kind:     hidden_group_size_x
      - .offset:         46
        .size:           2
        .value_kind:     hidden_group_size_y
      - .offset:         48
        .size:           2
        .value_kind:     hidden_group_size_z
      - .offset:         50
        .size:           2
        .value_kind:     hidden_remainder_x
      - .offset:         52
        .size:           2
        .value_kind:     hidden_remainder_y
      - .offset:         54
        .size:           2
        .value_kind:     hidden_remainder_z
      - .offset:         72
        .size:           8
        .value_kind:     hidden_global_offset_x
      - .offset:         80
        .size:           8
        .value_kind:     hidden_global_offset_y
      - .offset:         88
        .size:           8
        .value_kind:     hidden_global_offset_z
      - .offset:         96
        .size:           2
        .value_kind:     hidden_grid_dims
    .group_segment_fixed_size: 0
    .kernarg_segment_align: 8
    .kernarg_segment_size: 288
    .language:       OpenCL C
    .language_version:
      - 2
      - 0
    .max_flat_workgroup_size: 1024
    .name:           _ZN7rocprim6detail16transform_kernelINS0_24wrapped_transform_configINS_14default_configEdEEdPdS5_NS_8identityIdEEEEvT1_mT2_T3_
    .private_segment_fixed_size: 0
    .sgpr_count:     20
    .sgpr_spill_count: 0
    .symbol:         _ZN7rocprim6detail16transform_kernelINS0_24wrapped_transform_configINS_14default_configEdEEdPdS5_NS_8identityIdEEEEvT1_mT2_T3_.kd
    .uniform_work_group_size: 1
    .uses_dynamic_stack: false
    .vgpr_count:     18
    .vgpr_spill_count: 0
    .wavefront_size: 64
  - .agpr_count:     0
    .args:
      - .address_space:  global
        .offset:         0
        .size:           8
        .value_kind:     global_buffer
      - .offset:         8
        .size:           8
        .value_kind:     by_value
      - .offset:         16
        .size:           8
        .value_kind:     by_value
      - .address_space:  global
        .offset:         24
        .size:           8
        .value_kind:     global_buffer
      - .offset:         32
        .size:           1
        .value_kind:     by_value
    .group_segment_fixed_size: 30720
    .kernarg_segment_align: 8
    .kernarg_segment_size: 36
    .language:       OpenCL C
    .language_version:
      - 2
      - 0
    .max_flat_workgroup_size: 256
    .name:           _ZN7rocprim6detail18single_scan_kernelILb1ENS0_19wrapped_scan_configINS_14default_configEdEEPdS5_N4RAJA9operators4plusIdddEEddEEvT1_mT4_T2_T3_
    .private_segment_fixed_size: 0
    .sgpr_count:     82
    .sgpr_spill_count: 0
    .symbol:         _ZN7rocprim6detail18single_scan_kernelILb1ENS0_19wrapped_scan_configINS_14default_configEdEEPdS5_N4RAJA9operators4plusIdddEEddEEvT1_mT4_T2_T3_.kd
    .uniform_work_group_size: 1
    .uses_dynamic_stack: false
    .vgpr_count:     48
    .vgpr_spill_count: 0
    .wavefront_size: 64
  - .agpr_count:     0
    .args:
      - .address_space:  global
        .offset:         0
        .size:           8
        .value_kind:     global_buffer
      - .address_space:  global
        .offset:         8
        .size:           8
        .value_kind:     global_buffer
      - .address_space:  global
        .offset:         16
        .size:           8
        .value_kind:     global_buffer
      - .address_space:  global
        .offset:         24
        .size:           8
        .value_kind:     global_buffer
      - .address_space:  global
        .offset:         32
        .size:           8
        .value_kind:     global_buffer
      - .offset:         40
        .size:           8
        .value_kind:     by_value
      - .offset:         48
        .size:           4
        .value_kind:     hidden_block_count_x
      - .offset:         52
        .size:           4
        .value_kind:     hidden_block_count_y
      - .offset:         56
        .size:           4
        .value_kind:     hidden_block_count_z
      - .offset:         60
        .size:           2
        .value_kind:     hidden_group_size_x
      - .offset:         62
        .size:           2
        .value_kind:     hidden_group_size_y
      - .offset:         64
        .size:           2
        .value_kind:     hidden_group_size_z
      - .offset:         66
        .size:           2
        .value_kind:     hidden_remainder_x
      - .offset:         68
        .size:           2
        .value_kind:     hidden_remainder_y
      - .offset:         70
        .size:           2
        .value_kind:     hidden_remainder_z
      - .offset:         88
        .size:           8
        .value_kind:     hidden_global_offset_x
      - .offset:         96
        .size:           8
        .value_kind:     hidden_global_offset_y
      - .offset:         104
        .size:           8
        .value_kind:     hidden_global_offset_z
      - .offset:         112
        .size:           2
        .value_kind:     hidden_grid_dims
    .group_segment_fixed_size: 30720
    .kernarg_segment_align: 8
    .kernarg_segment_size: 304
    .language:       OpenCL C
    .language_version:
      - 2
      - 0
    .max_flat_workgroup_size: 256
    .name:           _ZN8rajaperf9algorithm11scan_customILm256ELm15EEEvPdS2_S2_S2_Pjl
    .private_segment_fixed_size: 0
    .sgpr_count:     62
    .sgpr_spill_count: 0
    .symbol:         _ZN8rajaperf9algorithm11scan_customILm256ELm15EEEvPdS2_S2_S2_Pjl.kd
    .uniform_work_group_size: 1
    .uses_dynamic_stack: false
    .vgpr_count:     94
    .vgpr_spill_count: 0
    .wavefront_size: 64
amdhsa.target:   amdgcn-amd-amdhsa--gfx942
amdhsa.version:
  - 1
  - 2
...

	.end_amdgpu_metadata
